;; amdgpu-corpus repo=ROCm/rocm-examples kind=compiled arch=gfx1250 opt=O3
	.amdgcn_target "amdgcn-amd-amdhsa--gfx1250"
	.amdhsa_code_object_version 6
	.section	.text._Z14transposeNaiveIiEvPT_PKS0_m,"axG",@progbits,_Z14transposeNaiveIiEvPT_PKS0_m,comdat
	.protected	_Z14transposeNaiveIiEvPT_PKS0_m ; -- Begin function _Z14transposeNaiveIiEvPT_PKS0_m
	.globl	_Z14transposeNaiveIiEvPT_PKS0_m
	.p2align	8
	.type	_Z14transposeNaiveIiEvPT_PKS0_m,@function
_Z14transposeNaiveIiEvPT_PKS0_m:        ; @_Z14transposeNaiveIiEvPT_PKS0_m
; %bb.0:
	v_bfe_u32 v2, v0, 10, 10
	s_mov_b32 s2, exec_lo
	s_delay_alu instid0(VALU_DEP_1)
	v_cmpx_gt_u32_e32 64, v2
	s_cbranch_execz .LBB0_3
; %bb.1:
	v_dual_mov_b32 v11, 0 :: v_dual_lshlrev_b32 v12, 2, v2
	s_load_b64 s[4:5], s[0:1], 0x10
	s_bfe_u32 s6, ttmp6, 0x4000c
	s_bfe_u32 s7, ttmp6, 0x40010
	global_load_u16 v8, v11, s[0:1] offset:38
	s_add_co_i32 s6, s6, 1
	s_add_co_i32 s7, s7, 1
	s_and_b32 s2, ttmp6, 15
	s_bfe_u32 s8, ttmp6, 0x40004
	s_mul_i32 s6, ttmp9, s6
	s_mul_i32 s7, ttmp7, s7
	s_getreg_b32 s9, hwreg(HW_REG_IB_STS2, 6, 4)
	s_add_co_i32 s2, s2, s6
	s_add_co_i32 s8, s8, s7
	s_cmp_eq_u32 s9, 0
	v_mov_b32_e32 v3, v11
	s_cselect_b32 s6, ttmp7, s8
	v_and_b32_e32 v4, 0x3ff, v0
	s_mov_b32 s3, 0
	s_cselect_b32 s7, ttmp9, s2
	s_lshl_b32 s2, s6, 6
	s_delay_alu instid0(SALU_CYCLE_1) | instskip(SKIP_2) | instid1(VALU_DEP_1)
	v_add_nc_u64_e32 v[0:1], s[2:3], v[2:3]
	v_lshl_add_u32 v10, s7, 6, v4
	s_wait_kmcnt 0x0
	v_mul_u64_e32 v[4:5], s[4:5], v[10:11]
	s_delay_alu instid0(VALU_DEP_3) | instskip(SKIP_2) | instid1(VALU_DEP_1)
	v_mul_u64_e32 v[6:7], s[4:5], v[0:1]
	v_mov_b32_e32 v1, v11
	v_lshlrev_b64_e32 v[14:15], 2, v[10:11]
	v_lshl_add_u64 v[6:7], v[6:7], 2, v[14:15]
	s_wait_loadcnt 0x0
	v_and_b32_e32 v0, 0xffff, v8
	s_delay_alu instid0(VALU_DEP_1) | instskip(SKIP_2) | instid1(VALU_DEP_2)
	v_dual_mov_b32 v13, v11 :: v_dual_lshlrev_b32 v10, 2, v0
	v_mul_u64_e32 v[8:9], s[4:5], v[0:1]
	s_load_b128 s[4:7], s[0:1], 0x0
	v_lshl_add_u64 v[4:5], v[4:5], 2, v[12:13]
	s_wait_xcnt 0x0
	s_lshl_b64 s[0:1], s[2:3], 2
	s_wait_kmcnt 0x0
	s_add_nc_u64 s[0:1], s[4:5], s[0:1]
	v_add_nc_u64_e32 v[6:7], s[6:7], v[6:7]
	v_add_nc_u64_e32 v[4:5], s[0:1], v[4:5]
	s_delay_alu instid0(VALU_DEP_4)
	v_lshlrev_b64_e32 v[8:9], 2, v[8:9]
.LBB0_2:                                ; =>This Inner Loop Header: Depth=1
	global_load_b32 v12, v[6:7], off
	v_add_nc_u64_e32 v[2:3], v[2:3], v[0:1]
	s_wait_xcnt 0x0
	v_add_nc_u64_e32 v[6:7], v[6:7], v[8:9]
	s_delay_alu instid0(VALU_DEP_2)
	v_cmp_lt_u64_e32 vcc_lo, 63, v[2:3]
	s_or_b32 s3, vcc_lo, s3
	s_wait_loadcnt 0x0
	global_store_b32 v[4:5], v12, off
	s_wait_xcnt 0x0
	v_add_nc_u64_e32 v[4:5], v[4:5], v[10:11]
	s_and_not1_b32 exec_lo, exec_lo, s3
	s_cbranch_execnz .LBB0_2
.LBB0_3:
	s_endpgm
	.section	.rodata,"a",@progbits
	.p2align	6, 0x0
	.amdhsa_kernel _Z14transposeNaiveIiEvPT_PKS0_m
		.amdhsa_group_segment_fixed_size 0
		.amdhsa_private_segment_fixed_size 0
		.amdhsa_kernarg_size 280
		.amdhsa_user_sgpr_count 2
		.amdhsa_user_sgpr_dispatch_ptr 0
		.amdhsa_user_sgpr_queue_ptr 0
		.amdhsa_user_sgpr_kernarg_segment_ptr 1
		.amdhsa_user_sgpr_dispatch_id 0
		.amdhsa_user_sgpr_kernarg_preload_length 0
		.amdhsa_user_sgpr_kernarg_preload_offset 0
		.amdhsa_user_sgpr_private_segment_size 0
		.amdhsa_wavefront_size32 1
		.amdhsa_uses_dynamic_stack 0
		.amdhsa_enable_private_segment 0
		.amdhsa_system_sgpr_workgroup_id_x 1
		.amdhsa_system_sgpr_workgroup_id_y 1
		.amdhsa_system_sgpr_workgroup_id_z 0
		.amdhsa_system_sgpr_workgroup_info 0
		.amdhsa_system_vgpr_workitem_id 1
		.amdhsa_next_free_vgpr 16
		.amdhsa_next_free_sgpr 10
		.amdhsa_named_barrier_count 0
		.amdhsa_reserve_vcc 1
		.amdhsa_float_round_mode_32 0
		.amdhsa_float_round_mode_16_64 0
		.amdhsa_float_denorm_mode_32 3
		.amdhsa_float_denorm_mode_16_64 3
		.amdhsa_fp16_overflow 0
		.amdhsa_memory_ordered 1
		.amdhsa_forward_progress 1
		.amdhsa_inst_pref_size 3
		.amdhsa_round_robin_scheduling 0
		.amdhsa_exception_fp_ieee_invalid_op 0
		.amdhsa_exception_fp_denorm_src 0
		.amdhsa_exception_fp_ieee_div_zero 0
		.amdhsa_exception_fp_ieee_overflow 0
		.amdhsa_exception_fp_ieee_underflow 0
		.amdhsa_exception_fp_ieee_inexact 0
		.amdhsa_exception_int_div_zero 0
	.end_amdhsa_kernel
	.section	.text._Z14transposeNaiveIiEvPT_PKS0_m,"axG",@progbits,_Z14transposeNaiveIiEvPT_PKS0_m,comdat
.Lfunc_end0:
	.size	_Z14transposeNaiveIiEvPT_PKS0_m, .Lfunc_end0-_Z14transposeNaiveIiEvPT_PKS0_m
                                        ; -- End function
	.set _Z14transposeNaiveIiEvPT_PKS0_m.num_vgpr, 16
	.set _Z14transposeNaiveIiEvPT_PKS0_m.num_agpr, 0
	.set _Z14transposeNaiveIiEvPT_PKS0_m.numbered_sgpr, 10
	.set _Z14transposeNaiveIiEvPT_PKS0_m.num_named_barrier, 0
	.set _Z14transposeNaiveIiEvPT_PKS0_m.private_seg_size, 0
	.set _Z14transposeNaiveIiEvPT_PKS0_m.uses_vcc, 1
	.set _Z14transposeNaiveIiEvPT_PKS0_m.uses_flat_scratch, 0
	.set _Z14transposeNaiveIiEvPT_PKS0_m.has_dyn_sized_stack, 0
	.set _Z14transposeNaiveIiEvPT_PKS0_m.has_recursion, 0
	.set _Z14transposeNaiveIiEvPT_PKS0_m.has_indirect_call, 0
	.section	.AMDGPU.csdata,"",@progbits
; Kernel info:
; codeLenInByte = 336
; TotalNumSgprs: 12
; NumVgprs: 16
; ScratchSize: 0
; MemoryBound: 0
; FloatMode: 240
; IeeeMode: 1
; LDSByteSize: 0 bytes/workgroup (compile time only)
; SGPRBlocks: 0
; VGPRBlocks: 0
; NumSGPRsForWavesPerEU: 12
; NumVGPRsForWavesPerEU: 16
; NamedBarCnt: 0
; Occupancy: 16
; WaveLimiterHint : 0
; COMPUTE_PGM_RSRC2:SCRATCH_EN: 0
; COMPUTE_PGM_RSRC2:USER_SGPR: 2
; COMPUTE_PGM_RSRC2:TRAP_HANDLER: 0
; COMPUTE_PGM_RSRC2:TGID_X_EN: 1
; COMPUTE_PGM_RSRC2:TGID_Y_EN: 1
; COMPUTE_PGM_RSRC2:TGID_Z_EN: 0
; COMPUTE_PGM_RSRC2:TIDIG_COMP_CNT: 1
	.section	.text._Z27transposeLdsNoBankConflictsIiEvPT_PKS0_m,"axG",@progbits,_Z27transposeLdsNoBankConflictsIiEvPT_PKS0_m,comdat
	.protected	_Z27transposeLdsNoBankConflictsIiEvPT_PKS0_m ; -- Begin function _Z27transposeLdsNoBankConflictsIiEvPT_PKS0_m
	.globl	_Z27transposeLdsNoBankConflictsIiEvPT_PKS0_m
	.p2align	8
	.type	_Z27transposeLdsNoBankConflictsIiEvPT_PKS0_m,@function
_Z27transposeLdsNoBankConflictsIiEvPT_PKS0_m: ; @_Z27transposeLdsNoBankConflictsIiEvPT_PKS0_m
; %bb.0:
	s_bfe_u32 s3, ttmp6, 0x4000c
	s_bfe_u32 s6, ttmp6, 0x40010
	s_add_co_i32 s3, s3, 1
	s_add_co_i32 s6, s6, 1
	s_and_b32 s2, ttmp6, 15
	s_bfe_u32 s7, ttmp6, 0x40004
	s_mul_i32 s3, ttmp9, s3
	s_mul_i32 s6, ttmp7, s6
	s_getreg_b32 s8, hwreg(HW_REG_IB_STS2, 6, 4)
	s_add_co_i32 s2, s2, s3
	s_add_co_i32 s7, s7, s6
	s_cmp_eq_u32 s8, 0
	v_bfe_u32 v5, v0, 10, 10
	s_cselect_b32 s3, ttmp7, s7
	s_cselect_b32 s6, ttmp9, s2
	s_lshl_b32 s16, s3, 6
	s_delay_alu instid0(VALU_DEP_1) | instid1(SALU_CYCLE_1)
	v_dual_mov_b32 v1, 0 :: v_dual_add_nc_u32 v2, s16, v5
	s_load_b64 s[4:5], s[0:1], 0x10
	v_and_b32_e32 v6, 0x3ff, v0
	s_lshl_b32 s18, s6, 6
	global_load_u16 v4, v1, s[0:1] offset:38
	v_mov_b32_e32 v3, v1
	s_wait_xcnt 0x0
	s_load_b128 s[0:3], s[0:1], 0x0
	v_dual_lshlrev_b32 v7, 2, v6 :: v_dual_add_nc_u32 v0, s18, v6
	s_mov_b32 s7, 0
	s_mov_b32 s8, -1
	s_delay_alu instid0(VALU_DEP_1) | instskip(SKIP_2) | instid1(VALU_DEP_1)
	v_mad_u32_u24 v7, 0x104, v5, v7
	s_wait_kmcnt 0x0
	v_mul_u64_e32 v[2:3], s[4:5], v[2:3]
	v_lshl_add_u64 v[2:3], v[2:3], 2, s[2:3]
	s_delay_alu instid0(VALU_DEP_1) | instskip(SKIP_3) | instid1(SALU_CYCLE_1)
	v_lshl_add_u64 v[0:1], v[0:1], 2, v[2:3]
	s_wait_loadcnt 0x0
	v_readfirstlane_b32 s6, v4
	s_and_b32 s6, s6, 0xffff
	s_cmp_lg_u32 s6, 1
	s_mul_u64 s[2:3], s[4:5], s[6:7]
	s_cselect_b32 s17, -1, 0
	s_cmp_eq_u32 s6, 1
	s_cbranch_scc1 .LBB1_4
; %bb.1:
	v_mov_b64_e32 v[2:3], v[0:1]
	v_mov_b32_e32 v8, v7
	s_lshl_b64 s[8:9], s[2:3], 2
	s_mul_i32 s12, s6, 0x104
	s_mov_b64 s[10:11], 0
.LBB1_2:                                ; =>This Inner Loop Header: Depth=1
	global_load_b32 v9, v[2:3], off
	s_add_nc_u64 s[10:11], s[10:11], s[6:7]
	s_wait_xcnt 0x0
	v_add_nc_u64_e32 v[2:3], s[8:9], v[2:3]
	v_cmp_gt_u64_e64 s13, s[10:11], 63
	s_and_b32 vcc_lo, exec_lo, s13
	s_wait_loadcnt 0x0
	ds_store_b32 v8, v9
	v_add_nc_u32_e32 v8, s12, v8
	s_cbranch_vccz .LBB1_2
; %bb.3:
	s_mov_b32 s8, 0
.LBB1_4:
	s_delay_alu instid0(SALU_CYCLE_1)
	s_and_b32 vcc_lo, exec_lo, s8
	s_cbranch_vccz .LBB1_7
; %bb.5:
	s_mov_b32 s8, s4
	s_mov_b32 s9, s5
	s_mov_b64 s[10:11], 1
	s_mov_b64 s[12:13], 0
	;; [unrolled: 1-line block ×3, first 2 shown]
.LBB1_6:                                ; =>This Inner Loop Header: Depth=1
	s_mul_u64 s[20:21], s[10:11], s[8:9]
	s_mul_u64 s[22:23], s[12:13], s[4:5]
	s_add_nc_u64 s[24:25], s[12:13], 2
	s_add_nc_u64 s[26:27], s[10:11], 2
	v_lshl_add_u64 v[2:3], s[22:23], 2, v[0:1]
	v_lshl_add_u64 v[8:9], s[20:21], 2, v[0:1]
	s_mul_u64 s[20:21], s[24:25], s[4:5]
	s_mul_u64 s[22:23], s[26:27], s[8:9]
	v_lshl_add_u64 v[10:11], s[20:21], 2, v[0:1]
	v_lshl_add_u64 v[12:13], s[22:23], 2, v[0:1]
	s_clause 0x3
	global_load_b32 v14, v[2:3], off
	global_load_b32 v15, v[8:9], off
	;; [unrolled: 1-line block ×4, first 2 shown]
	s_wait_xcnt 0x3
	v_mad_u32 v2, 0x104, s12, v7
	v_mad_u32 v3, 0x104, s10, v7
	s_wait_xcnt 0x2
	v_mad_u32 v8, 0x104, s24, v7
	v_mad_u32 v9, 0x104, s26, v7
	s_add_nc_u64 s[14:15], s[14:15], -4
	s_add_nc_u64 s[12:13], s[12:13], 4
	s_add_nc_u64 s[10:11], s[10:11], 4
	s_cmp_eq_u64 s[14:15], 0
	s_wait_loadcnt 0x3
	ds_store_b32 v2, v14
	s_wait_loadcnt 0x2
	ds_store_b32 v3, v15
	;; [unrolled: 2-line block ×4, first 2 shown]
	s_cbranch_scc0 .LBB1_6
.LBB1_7:
	v_dual_mov_b32 v1, 0 :: v_dual_add_nc_u32 v0, s18, v5
	s_and_not1_b32 vcc_lo, exec_lo, s17
	s_wait_dscnt 0x0
	s_barrier_signal -1
	v_lshlrev_b32_e32 v5, 2, v5
	v_mul_u64_e32 v[2:3], s[4:5], v[0:1]
	v_add_nc_u32_e32 v0, s16, v6
	s_barrier_wait -1
	s_delay_alu instid0(VALU_DEP_3) | instskip(NEXT) | instid1(VALU_DEP_3)
	v_mad_u32_u24 v5, 0x104, v6, v5
	v_lshl_add_u64 v[2:3], v[2:3], 2, s[0:1]
	s_mov_b32 s0, -1
	s_delay_alu instid0(VALU_DEP_1)
	v_lshl_add_u64 v[0:1], v[0:1], 2, v[2:3]
	s_cbranch_vccnz .LBB1_11
; %bb.8:
	v_and_b32_e32 v2, 0xffff, v4
	v_mov_b32_e32 v4, v5
	s_lshl_b64 s[0:1], s[2:3], 2
	s_mov_b64 s[2:3], 0
	s_delay_alu instid0(VALU_DEP_2)
	v_lshlrev_b32_e32 v6, 2, v2
	v_mov_b64_e32 v[2:3], v[0:1]
.LBB1_9:                                ; =>This Inner Loop Header: Depth=1
	ds_load_b32 v7, v4
	s_add_nc_u64 s[2:3], s[2:3], s[6:7]
	v_add_nc_u32_e32 v4, v4, v6
	v_cmp_gt_u64_e64 s8, s[2:3], 63
	s_and_b32 vcc_lo, exec_lo, s8
	s_wait_dscnt 0x0
	global_store_b32 v[2:3], v7, off
	s_wait_xcnt 0x0
	v_add_nc_u64_e32 v[2:3], s[0:1], v[2:3]
	s_cbranch_vccz .LBB1_9
; %bb.10:
	s_mov_b32 s0, 0
.LBB1_11:
	s_delay_alu instid0(SALU_CYCLE_1)
	s_and_b32 vcc_lo, exec_lo, s0
	s_cbranch_vccz .LBB1_14
; %bb.12:
	s_mov_b32 s0, s4
	s_mov_b32 s1, s5
	s_mov_b64 s[2:3], 1
	s_mov_b64 s[6:7], 0
	;; [unrolled: 1-line block ×3, first 2 shown]
.LBB1_13:                               ; =>This Inner Loop Header: Depth=1
	s_wait_xcnt 0x2
	ds_load_2addr_b32 v[2:3], v5 offset1:1
	s_wait_xcnt 0x0
	ds_load_2addr_b32 v[6:7], v5 offset0:2 offset1:3
	s_mul_u64 s[10:11], s[2:3], s[0:1]
	s_mul_u64 s[12:13], s[6:7], s[4:5]
	s_add_nc_u64 s[14:15], s[6:7], 2
	s_add_nc_u64 s[16:17], s[2:3], 2
	v_add_nc_u32_e32 v5, 16, v5
	v_lshl_add_u64 v[8:9], s[12:13], 2, v[0:1]
	v_lshl_add_u64 v[10:11], s[10:11], 2, v[0:1]
	s_mul_u64 s[10:11], s[14:15], s[4:5]
	s_add_nc_u64 s[8:9], s[8:9], -4
	s_mul_u64 s[12:13], s[16:17], s[0:1]
	v_lshl_add_u64 v[12:13], s[10:11], 2, v[0:1]
	s_add_nc_u64 s[6:7], s[6:7], 4
	s_add_nc_u64 s[2:3], s[2:3], 4
	v_lshl_add_u64 v[14:15], s[12:13], 2, v[0:1]
	s_cmp_eq_u64 s[8:9], 0
	s_wait_dscnt 0x1
	s_clause 0x1
	global_store_b32 v[8:9], v2, off
	global_store_b32 v[10:11], v3, off
	s_wait_dscnt 0x0
	s_clause 0x1
	global_store_b32 v[12:13], v6, off
	global_store_b32 v[14:15], v7, off
	s_cbranch_scc0 .LBB1_13
.LBB1_14:
	s_endpgm
	.section	.rodata,"a",@progbits
	.p2align	6, 0x0
	.amdhsa_kernel _Z27transposeLdsNoBankConflictsIiEvPT_PKS0_m
		.amdhsa_group_segment_fixed_size 16640
		.amdhsa_private_segment_fixed_size 0
		.amdhsa_kernarg_size 280
		.amdhsa_user_sgpr_count 2
		.amdhsa_user_sgpr_dispatch_ptr 0
		.amdhsa_user_sgpr_queue_ptr 0
		.amdhsa_user_sgpr_kernarg_segment_ptr 1
		.amdhsa_user_sgpr_dispatch_id 0
		.amdhsa_user_sgpr_kernarg_preload_length 0
		.amdhsa_user_sgpr_kernarg_preload_offset 0
		.amdhsa_user_sgpr_private_segment_size 0
		.amdhsa_wavefront_size32 1
		.amdhsa_uses_dynamic_stack 0
		.amdhsa_enable_private_segment 0
		.amdhsa_system_sgpr_workgroup_id_x 1
		.amdhsa_system_sgpr_workgroup_id_y 1
		.amdhsa_system_sgpr_workgroup_id_z 0
		.amdhsa_system_sgpr_workgroup_info 0
		.amdhsa_system_vgpr_workitem_id 1
		.amdhsa_next_free_vgpr 18
		.amdhsa_next_free_sgpr 28
		.amdhsa_named_barrier_count 0
		.amdhsa_reserve_vcc 1
		.amdhsa_float_round_mode_32 0
		.amdhsa_float_round_mode_16_64 0
		.amdhsa_float_denorm_mode_32 3
		.amdhsa_float_denorm_mode_16_64 3
		.amdhsa_fp16_overflow 0
		.amdhsa_memory_ordered 1
		.amdhsa_forward_progress 1
		.amdhsa_inst_pref_size 8
		.amdhsa_round_robin_scheduling 0
		.amdhsa_exception_fp_ieee_invalid_op 0
		.amdhsa_exception_fp_denorm_src 0
		.amdhsa_exception_fp_ieee_div_zero 0
		.amdhsa_exception_fp_ieee_overflow 0
		.amdhsa_exception_fp_ieee_underflow 0
		.amdhsa_exception_fp_ieee_inexact 0
		.amdhsa_exception_int_div_zero 0
	.end_amdhsa_kernel
	.section	.text._Z27transposeLdsNoBankConflictsIiEvPT_PKS0_m,"axG",@progbits,_Z27transposeLdsNoBankConflictsIiEvPT_PKS0_m,comdat
.Lfunc_end1:
	.size	_Z27transposeLdsNoBankConflictsIiEvPT_PKS0_m, .Lfunc_end1-_Z27transposeLdsNoBankConflictsIiEvPT_PKS0_m
                                        ; -- End function
	.set _Z27transposeLdsNoBankConflictsIiEvPT_PKS0_m.num_vgpr, 18
	.set _Z27transposeLdsNoBankConflictsIiEvPT_PKS0_m.num_agpr, 0
	.set _Z27transposeLdsNoBankConflictsIiEvPT_PKS0_m.numbered_sgpr, 28
	.set _Z27transposeLdsNoBankConflictsIiEvPT_PKS0_m.num_named_barrier, 0
	.set _Z27transposeLdsNoBankConflictsIiEvPT_PKS0_m.private_seg_size, 0
	.set _Z27transposeLdsNoBankConflictsIiEvPT_PKS0_m.uses_vcc, 1
	.set _Z27transposeLdsNoBankConflictsIiEvPT_PKS0_m.uses_flat_scratch, 0
	.set _Z27transposeLdsNoBankConflictsIiEvPT_PKS0_m.has_dyn_sized_stack, 0
	.set _Z27transposeLdsNoBankConflictsIiEvPT_PKS0_m.has_recursion, 0
	.set _Z27transposeLdsNoBankConflictsIiEvPT_PKS0_m.has_indirect_call, 0
	.section	.AMDGPU.csdata,"",@progbits
; Kernel info:
; codeLenInByte = 964
; TotalNumSgprs: 30
; NumVgprs: 18
; ScratchSize: 0
; MemoryBound: 0
; FloatMode: 240
; IeeeMode: 1
; LDSByteSize: 16640 bytes/workgroup (compile time only)
; SGPRBlocks: 0
; VGPRBlocks: 1
; NumSGPRsForWavesPerEU: 30
; NumVGPRsForWavesPerEU: 18
; NamedBarCnt: 0
; Occupancy: 16
; WaveLimiterHint : 0
; COMPUTE_PGM_RSRC2:SCRATCH_EN: 0
; COMPUTE_PGM_RSRC2:USER_SGPR: 2
; COMPUTE_PGM_RSRC2:TRAP_HANDLER: 0
; COMPUTE_PGM_RSRC2:TGID_X_EN: 1
; COMPUTE_PGM_RSRC2:TGID_Y_EN: 1
; COMPUTE_PGM_RSRC2:TGID_Z_EN: 0
; COMPUTE_PGM_RSRC2:TIDIG_COMP_CNT: 1
	.section	.text._Z23transposeLdsSwapInplaceIiEvPT_PKS0_m,"axG",@progbits,_Z23transposeLdsSwapInplaceIiEvPT_PKS0_m,comdat
	.protected	_Z23transposeLdsSwapInplaceIiEvPT_PKS0_m ; -- Begin function _Z23transposeLdsSwapInplaceIiEvPT_PKS0_m
	.globl	_Z23transposeLdsSwapInplaceIiEvPT_PKS0_m
	.p2align	8
	.type	_Z23transposeLdsSwapInplaceIiEvPT_PKS0_m,@function
_Z23transposeLdsSwapInplaceIiEvPT_PKS0_m: ; @_Z23transposeLdsSwapInplaceIiEvPT_PKS0_m
; %bb.0:
	s_clause 0x1
	s_load_b128 s[4:7], s[0:1], 0x0
	s_load_b64 s[8:9], s[0:1], 0x10
	s_bfe_u32 s2, ttmp6, 0x4000c
	v_and_b32_e32 v6, 0x3ff, v0
	s_add_co_i32 s2, s2, 1
	v_mov_b32_e32 v9, 0
	v_bfe_u32 v0, v0, 10, 10
	s_and_b32 s10, ttmp6, 15
	s_mul_i32 s2, ttmp9, s2
	s_getreg_b32 s3, hwreg(HW_REG_IB_STS2, 6, 4)
	s_add_co_i32 s10, s10, s2
	s_cmp_eq_u32 s3, 0
	v_dual_mov_b32 v1, v9 :: v_dual_lshlrev_b32 v18, 2, v6
	v_cmp_gt_u32_e32 vcc_lo, 64, v0
	s_cselect_b32 s2, ttmp9, s10
	s_mov_b32 s15, 0
	s_lshl_b32 s10, s2, 6
	s_and_saveexec_b32 s11, vcc_lo
	s_cbranch_execz .LBB2_8
; %bb.1:
	global_load_u16 v2, v9, s[0:1] offset:38
	s_bfe_u32 s2, ttmp6, 0x40010
	s_bfe_u32 s12, ttmp6, 0x40004
	s_add_co_i32 s2, s2, 1
	v_add_nc_u32_e32 v8, s10, v6
	s_mul_i32 s2, ttmp7, s2
	s_delay_alu instid0(SALU_CYCLE_1) | instskip(SKIP_3) | instid1(SALU_CYCLE_1)
	s_add_co_i32 s12, s12, s2
	s_cmp_eq_u32 s3, 0
	v_cmp_ne_u32_e64 s2, 63, v0
	s_cselect_b32 s14, ttmp7, s12
	s_lshl_b32 s14, s14, 6
	s_wait_loadcnt 0x0
	v_readfirstlane_b32 s13, v2
	v_mov_b64_e32 v[2:3], v[0:1]
	s_and_b32 s12, 0xffff, s13
	s_delay_alu instid0(SALU_CYCLE_1) | instskip(SKIP_1) | instid1(SALU_CYCLE_1)
	s_cmp_eq_u32 s12, 1
	s_cselect_b32 s13, -1, 0
	s_and_b32 s16, s2, s13
	s_mov_b32 s2, -1
	s_and_saveexec_b32 s13, s16
	s_cbranch_execz .LBB2_5
; %bb.2:
	v_sub_nc_u64_e32 v[10:11], 64, v[0:1]
	v_dual_mov_b32 v13, 0 :: v_dual_add_nc_u32 v2, 1, v0
	s_wait_kmcnt 0x0
	v_lshl_add_u64 v[14:15], v[8:9], 2, s[6:7]
	s_mov_b32 s20, 0
	s_mov_b32 s16, s14
	v_mov_b32_e32 v3, v13
	v_and_b32_e32 v12, 0x7e, v10
	s_mov_b32 s17, s15
	s_mov_b32 s18, s8
	s_mov_b32 s19, s9
	v_mov_b64_e32 v[4:5], v[2:3]
	v_mov_b64_e32 v[16:17], v[12:13]
	;; [unrolled: 1-line block ×3, first 2 shown]
.LBB2_3:                                ; =>This Inner Loop Header: Depth=1
	s_delay_alu instid0(VALU_DEP_1) | instskip(NEXT) | instid1(VALU_DEP_4)
	v_add_nc_u64_e32 v[20:21], s[14:15], v[2:3]
	v_add_nc_u64_e32 v[22:23], s[16:17], v[4:5]
	s_delay_alu instid0(VALU_DEP_4) | instskip(NEXT) | instid1(VALU_DEP_3)
	v_add_nc_u64_e32 v[16:17], -2, v[16:17]
	v_mul_u64_e32 v[20:21], s[8:9], v[20:21]
	s_delay_alu instid0(VALU_DEP_3) | instskip(NEXT) | instid1(VALU_DEP_3)
	v_mul_u64_e32 v[22:23], s[18:19], v[22:23]
	v_cmp_eq_u64_e64 s2, 0, v[16:17]
	s_or_b32 s20, s2, s20
	v_lshl_add_u64 v[20:21], v[20:21], 2, v[14:15]
	v_lshl_add_u64 v[22:23], v[22:23], 2, v[14:15]
	s_clause 0x1
	global_load_b32 v7, v[20:21], off
	global_load_b32 v19, v[22:23], off
	s_wait_xcnt 0x1
	v_lshl_add_u32 v20, v2, 8, v18
	v_lshl_add_u32 v21, v4, 8, v18
	v_add_nc_u64_e32 v[4:5], 2, v[4:5]
	v_add_nc_u64_e32 v[2:3], 2, v[2:3]
	s_wait_loadcnt 0x1
	ds_store_b32 v20, v7
	s_wait_loadcnt 0x0
	ds_store_b32 v21, v19
	s_wait_xcnt 0x0
	s_and_not1_b32 exec_lo, exec_lo, s20
	s_cbranch_execnz .LBB2_3
; %bb.4:
	s_or_b32 exec_lo, exec_lo, s20
	v_cmp_ne_u64_e64 s2, v[10:11], v[12:13]
	v_dual_mov_b32 v3, 0 :: v_dual_add_nc_u32 v2, v12, v0
	s_or_not1_b32 s2, s2, exec_lo
.LBB2_5:
	s_or_b32 exec_lo, exec_lo, s13
	s_delay_alu instid0(SALU_CYCLE_1)
	s_and_b32 exec_lo, exec_lo, s2
	s_cbranch_execz .LBB2_8
; %bb.6:
	v_add_nc_u64_e32 v[4:5], s[14:15], v[2:3]
	v_lshlrev_b64_e32 v[8:9], 2, v[8:9]
	s_mov_b32 s13, 0
	v_lshl_add_u32 v7, v2, 8, v18
	s_lshl_b32 s14, s12, 8
	s_mov_b32 s15, s13
	s_wait_kmcnt 0x0
	v_mul_u64_e32 v[4:5], s[8:9], v[4:5]
	s_delay_alu instid0(VALU_DEP_1) | instskip(NEXT) | instid1(VALU_DEP_1)
	v_lshl_add_u64 v[4:5], v[4:5], 2, v[8:9]
	v_add_nc_u64_e32 v[4:5], s[6:7], v[4:5]
	s_mul_u64 s[6:7], s[8:9], s[12:13]
	s_delay_alu instid0(SALU_CYCLE_1)
	s_lshl_b64 s[6:7], s[6:7], 2
.LBB2_7:                                ; =>This Inner Loop Header: Depth=1
	global_load_b32 v8, v[4:5], off
	v_add_nc_u64_e32 v[2:3], s[12:13], v[2:3]
	s_wait_xcnt 0x0
	v_add_nc_u64_e32 v[4:5], s[6:7], v[4:5]
	s_delay_alu instid0(VALU_DEP_2)
	v_cmp_lt_u64_e64 s2, 63, v[2:3]
	s_or_b32 s15, s2, s15
	s_wait_loadcnt 0x0
	ds_store_b32 v7, v8
	v_add_nc_u32_e32 v7, s14, v7
	s_and_not1_b32 exec_lo, exec_lo, s15
	s_cbranch_execnz .LBB2_7
.LBB2_8:
	s_or_b32 exec_lo, exec_lo, s11
	s_wait_dscnt 0x0
	s_barrier_signal -1
	s_barrier_wait -1
	s_wait_kmcnt 0x0
	s_and_saveexec_b32 s6, vcc_lo
	s_cbranch_execz .LBB2_13
; %bb.9:
	v_dual_mov_b32 v7, 0 :: v_dual_lshlrev_b32 v5, 2, v0
	v_mul_u32_u24_e32 v4, 0xfc, v6
	v_lshl_add_u32 v8, v0, 8, v18
	s_mov_b32 s7, 0
	global_load_u16 v2, v7, s[0:1] offset:38
	v_add3_u32 v9, v4, v18, v5
	v_mov_b64_e32 v[4:5], v[0:1]
	s_wait_loadcnt 0x0
	v_and_b32_e32 v2, 0xffff, v2
	s_delay_alu instid0(VALU_DEP_1)
	v_dual_mov_b32 v3, v7 :: v_dual_lshlrev_b32 v10, 8, v2
	v_lshlrev_b32_e32 v11, 2, v2
	s_branch .LBB2_11
.LBB2_10:                               ;   in Loop: Header=BB2_11 Depth=1
	s_or_b32 exec_lo, exec_lo, s11
	v_add_nc_u64_e32 v[4:5], v[4:5], v[2:3]
	v_dual_add_nc_u32 v8, v8, v10 :: v_dual_add_nc_u32 v9, v9, v11
	s_delay_alu instid0(VALU_DEP_2) | instskip(SKIP_1) | instid1(SALU_CYCLE_1)
	v_cmp_lt_u64_e64 s2, 63, v[4:5]
	s_or_b32 s7, s2, s7
	s_and_not1_b32 exec_lo, exec_lo, s7
	s_cbranch_execz .LBB2_13
.LBB2_11:                               ; =>This Inner Loop Header: Depth=1
	s_mov_b32 s11, exec_lo
	v_cmpx_lt_u64_e64 v[4:5], v[6:7]
	s_cbranch_execz .LBB2_10
; %bb.12:                               ;   in Loop: Header=BB2_11 Depth=1
	ds_load_b32 v12, v9
	ds_load_b32 v13, v8
	s_wait_dscnt 0x1
	ds_store_b32 v8, v12
	s_wait_dscnt 0x1
	ds_store_b32 v9, v13
	s_branch .LBB2_10
.LBB2_13:
	s_or_b32 exec_lo, exec_lo, s6
	s_wait_dscnt 0x0
	s_barrier_signal -1
	s_barrier_wait -1
	s_and_saveexec_b32 s2, vcc_lo
	s_cbranch_execz .LBB2_21
; %bb.14:
	v_mov_b32_e32 v7, 0
	v_cmp_ne_u32_e32 vcc_lo, 63, v0
	s_mov_b32 s11, 0
	global_load_u16 v2, v7, s[0:1] offset:38
	s_wait_xcnt 0x0
	s_bfe_u32 s0, ttmp6, 0x40010
	s_bfe_u32 s1, ttmp6, 0x40004
	s_add_co_i32 s0, s0, 1
	s_delay_alu instid0(SALU_CYCLE_1) | instskip(NEXT) | instid1(SALU_CYCLE_1)
	s_mul_i32 s0, ttmp7, s0
	s_add_co_i32 s1, s1, s0
	s_cmp_eq_u32 s3, 0
	s_cselect_b32 s1, ttmp7, s1
	s_delay_alu instid0(SALU_CYCLE_1)
	v_lshl_add_u32 v6, s1, 6, v6
	s_wait_loadcnt 0x0
	v_readfirstlane_b32 s2, v2
	s_and_b32 s0, 0xffff, s2
	s_mov_b32 s2, -1
	s_cmp_eq_u32 s0, 1
	s_cselect_b32 s1, -1, 0
	s_delay_alu instid0(SALU_CYCLE_1) | instskip(NEXT) | instid1(SALU_CYCLE_1)
	s_and_b32 s3, vcc_lo, s1
	s_and_saveexec_b32 s1, s3
	s_cbranch_execz .LBB2_18
; %bb.15:
	v_sub_nc_u64_e32 v[8:9], 64, v[0:1]
	v_dual_mov_b32 v11, v7 :: v_dual_add_nc_u32 v2, 1, v0
	v_mov_b32_e32 v3, v7
	v_lshl_add_u64 v[12:13], v[6:7], 2, s[4:5]
	s_mov_b32 s2, s10
	s_mov_b32 s3, s11
	s_delay_alu instid0(VALU_DEP_4)
	v_and_b32_e32 v10, 0x7e, v8
	v_mov_b64_e32 v[4:5], v[2:3]
	v_mov_b64_e32 v[2:3], v[0:1]
	s_mov_b32 s6, s8
	s_mov_b32 s7, s9
	v_mov_b64_e32 v[14:15], v[10:11]
	s_mov_b32 s12, s11
.LBB2_16:                               ; =>This Inner Loop Header: Depth=1
	s_delay_alu instid0(VALU_DEP_2)
	v_add_nc_u64_e32 v[16:17], s[10:11], v[2:3]
	v_add_nc_u64_e32 v[20:21], s[2:3], v[4:5]
	v_lshl_add_u32 v1, v2, 8, v18
	v_lshl_add_u32 v19, v4, 8, v18
	v_add_nc_u64_e32 v[14:15], -2, v[14:15]
	ds_load_b32 v1, v1
	ds_load_b32 v19, v19
	v_mul_u64_e32 v[16:17], s[8:9], v[16:17]
	v_mul_u64_e32 v[20:21], s[6:7], v[20:21]
	v_add_nc_u64_e32 v[4:5], 2, v[4:5]
	v_cmp_eq_u64_e32 vcc_lo, 0, v[14:15]
	v_add_nc_u64_e32 v[2:3], 2, v[2:3]
	s_or_b32 s12, vcc_lo, s12
	v_lshl_add_u64 v[16:17], v[16:17], 2, v[12:13]
	v_lshl_add_u64 v[20:21], v[20:21], 2, v[12:13]
	s_wait_dscnt 0x1
	global_store_b32 v[16:17], v1, off
	s_wait_dscnt 0x0
	global_store_b32 v[20:21], v19, off
	s_wait_xcnt 0x0
	s_and_not1_b32 exec_lo, exec_lo, s12
	s_cbranch_execnz .LBB2_16
; %bb.17:
	s_or_b32 exec_lo, exec_lo, s12
	v_cmp_ne_u64_e32 vcc_lo, v[8:9], v[10:11]
	v_dual_mov_b32 v1, 0 :: v_dual_add_nc_u32 v0, v10, v0
	s_or_not1_b32 s2, vcc_lo, exec_lo
.LBB2_18:
	s_or_b32 exec_lo, exec_lo, s1
	s_delay_alu instid0(SALU_CYCLE_1)
	s_and_b32 exec_lo, exec_lo, s2
	s_cbranch_execz .LBB2_21
; %bb.19:
	v_add_nc_u64_e32 v[2:3], s[10:11], v[0:1]
	v_lshlrev_b64_e32 v[4:5], 2, v[6:7]
	s_mov_b32 s1, 0
	s_delay_alu instid0(SALU_CYCLE_1) | instskip(NEXT) | instid1(SALU_CYCLE_1)
	s_mul_u64 s[2:3], s[8:9], s[0:1]
	s_lshl_b64 s[2:3], s[2:3], 2
	s_delay_alu instid0(VALU_DEP_2) | instskip(NEXT) | instid1(VALU_DEP_1)
	v_mul_u64_e32 v[2:3], s[8:9], v[2:3]
	v_lshl_add_u64 v[2:3], v[2:3], 2, v[4:5]
	v_lshl_add_u32 v4, v0, 8, v18
	s_delay_alu instid0(VALU_DEP_2)
	v_add_nc_u64_e32 v[2:3], s[4:5], v[2:3]
	s_lshl_b32 s4, s0, 8
	s_mov_b32 s5, s1
.LBB2_20:                               ; =>This Inner Loop Header: Depth=1
	ds_load_b32 v5, v4
	v_add_nc_u64_e32 v[0:1], s[0:1], v[0:1]
	v_add_nc_u32_e32 v4, s4, v4
	s_delay_alu instid0(VALU_DEP_2)
	v_cmp_lt_u64_e32 vcc_lo, 63, v[0:1]
	s_or_b32 s5, vcc_lo, s5
	s_wait_dscnt 0x0
	global_store_b32 v[2:3], v5, off
	s_wait_xcnt 0x0
	v_add_nc_u64_e32 v[2:3], s[2:3], v[2:3]
	s_and_not1_b32 exec_lo, exec_lo, s5
	s_cbranch_execnz .LBB2_20
.LBB2_21:
	s_endpgm
	.section	.rodata,"a",@progbits
	.p2align	6, 0x0
	.amdhsa_kernel _Z23transposeLdsSwapInplaceIiEvPT_PKS0_m
		.amdhsa_group_segment_fixed_size 16384
		.amdhsa_private_segment_fixed_size 0
		.amdhsa_kernarg_size 280
		.amdhsa_user_sgpr_count 2
		.amdhsa_user_sgpr_dispatch_ptr 0
		.amdhsa_user_sgpr_queue_ptr 0
		.amdhsa_user_sgpr_kernarg_segment_ptr 1
		.amdhsa_user_sgpr_dispatch_id 0
		.amdhsa_user_sgpr_kernarg_preload_length 0
		.amdhsa_user_sgpr_kernarg_preload_offset 0
		.amdhsa_user_sgpr_private_segment_size 0
		.amdhsa_wavefront_size32 1
		.amdhsa_uses_dynamic_stack 0
		.amdhsa_enable_private_segment 0
		.amdhsa_system_sgpr_workgroup_id_x 1
		.amdhsa_system_sgpr_workgroup_id_y 1
		.amdhsa_system_sgpr_workgroup_id_z 0
		.amdhsa_system_sgpr_workgroup_info 0
		.amdhsa_system_vgpr_workitem_id 1
		.amdhsa_next_free_vgpr 24
		.amdhsa_next_free_sgpr 21
		.amdhsa_named_barrier_count 0
		.amdhsa_reserve_vcc 1
		.amdhsa_float_round_mode_32 0
		.amdhsa_float_round_mode_16_64 0
		.amdhsa_float_denorm_mode_32 3
		.amdhsa_float_denorm_mode_16_64 3
		.amdhsa_fp16_overflow 0
		.amdhsa_memory_ordered 1
		.amdhsa_forward_progress 1
		.amdhsa_inst_pref_size 11
		.amdhsa_round_robin_scheduling 0
		.amdhsa_exception_fp_ieee_invalid_op 0
		.amdhsa_exception_fp_denorm_src 0
		.amdhsa_exception_fp_ieee_div_zero 0
		.amdhsa_exception_fp_ieee_overflow 0
		.amdhsa_exception_fp_ieee_underflow 0
		.amdhsa_exception_fp_ieee_inexact 0
		.amdhsa_exception_int_div_zero 0
	.end_amdhsa_kernel
	.section	.text._Z23transposeLdsSwapInplaceIiEvPT_PKS0_m,"axG",@progbits,_Z23transposeLdsSwapInplaceIiEvPT_PKS0_m,comdat
.Lfunc_end2:
	.size	_Z23transposeLdsSwapInplaceIiEvPT_PKS0_m, .Lfunc_end2-_Z23transposeLdsSwapInplaceIiEvPT_PKS0_m
                                        ; -- End function
	.set _Z23transposeLdsSwapInplaceIiEvPT_PKS0_m.num_vgpr, 24
	.set _Z23transposeLdsSwapInplaceIiEvPT_PKS0_m.num_agpr, 0
	.set _Z23transposeLdsSwapInplaceIiEvPT_PKS0_m.numbered_sgpr, 21
	.set _Z23transposeLdsSwapInplaceIiEvPT_PKS0_m.num_named_barrier, 0
	.set _Z23transposeLdsSwapInplaceIiEvPT_PKS0_m.private_seg_size, 0
	.set _Z23transposeLdsSwapInplaceIiEvPT_PKS0_m.uses_vcc, 1
	.set _Z23transposeLdsSwapInplaceIiEvPT_PKS0_m.uses_flat_scratch, 0
	.set _Z23transposeLdsSwapInplaceIiEvPT_PKS0_m.has_dyn_sized_stack, 0
	.set _Z23transposeLdsSwapInplaceIiEvPT_PKS0_m.has_recursion, 0
	.set _Z23transposeLdsSwapInplaceIiEvPT_PKS0_m.has_indirect_call, 0
	.section	.AMDGPU.csdata,"",@progbits
; Kernel info:
; codeLenInByte = 1340
; TotalNumSgprs: 23
; NumVgprs: 24
; ScratchSize: 0
; MemoryBound: 0
; FloatMode: 240
; IeeeMode: 1
; LDSByteSize: 16384 bytes/workgroup (compile time only)
; SGPRBlocks: 0
; VGPRBlocks: 1
; NumSGPRsForWavesPerEU: 23
; NumVGPRsForWavesPerEU: 24
; NamedBarCnt: 0
; Occupancy: 16
; WaveLimiterHint : 0
; COMPUTE_PGM_RSRC2:SCRATCH_EN: 0
; COMPUTE_PGM_RSRC2:USER_SGPR: 2
; COMPUTE_PGM_RSRC2:TRAP_HANDLER: 0
; COMPUTE_PGM_RSRC2:TGID_X_EN: 1
; COMPUTE_PGM_RSRC2:TGID_Y_EN: 1
; COMPUTE_PGM_RSRC2:TGID_Z_EN: 0
; COMPUTE_PGM_RSRC2:TIDIG_COMP_CNT: 1
	.section	.text._Z14transposeNaiveIfEvPT_PKS0_m,"axG",@progbits,_Z14transposeNaiveIfEvPT_PKS0_m,comdat
	.protected	_Z14transposeNaiveIfEvPT_PKS0_m ; -- Begin function _Z14transposeNaiveIfEvPT_PKS0_m
	.globl	_Z14transposeNaiveIfEvPT_PKS0_m
	.p2align	8
	.type	_Z14transposeNaiveIfEvPT_PKS0_m,@function
_Z14transposeNaiveIfEvPT_PKS0_m:        ; @_Z14transposeNaiveIfEvPT_PKS0_m
; %bb.0:
	v_bfe_u32 v2, v0, 10, 10
	s_mov_b32 s2, exec_lo
	s_delay_alu instid0(VALU_DEP_1)
	v_cmpx_gt_u32_e32 64, v2
	s_cbranch_execz .LBB3_3
; %bb.1:
	v_dual_mov_b32 v11, 0 :: v_dual_lshlrev_b32 v12, 2, v2
	s_load_b64 s[4:5], s[0:1], 0x10
	s_bfe_u32 s6, ttmp6, 0x4000c
	s_bfe_u32 s7, ttmp6, 0x40010
	global_load_u16 v8, v11, s[0:1] offset:38
	s_add_co_i32 s6, s6, 1
	s_add_co_i32 s7, s7, 1
	s_and_b32 s2, ttmp6, 15
	s_bfe_u32 s8, ttmp6, 0x40004
	s_mul_i32 s6, ttmp9, s6
	s_mul_i32 s7, ttmp7, s7
	s_getreg_b32 s9, hwreg(HW_REG_IB_STS2, 6, 4)
	s_add_co_i32 s2, s2, s6
	s_add_co_i32 s8, s8, s7
	s_cmp_eq_u32 s9, 0
	v_mov_b32_e32 v3, v11
	s_cselect_b32 s6, ttmp7, s8
	v_and_b32_e32 v4, 0x3ff, v0
	s_mov_b32 s3, 0
	s_cselect_b32 s7, ttmp9, s2
	s_lshl_b32 s2, s6, 6
	s_delay_alu instid0(SALU_CYCLE_1) | instskip(SKIP_2) | instid1(VALU_DEP_1)
	v_add_nc_u64_e32 v[0:1], s[2:3], v[2:3]
	v_lshl_add_u32 v10, s7, 6, v4
	s_wait_kmcnt 0x0
	v_mul_u64_e32 v[4:5], s[4:5], v[10:11]
	s_delay_alu instid0(VALU_DEP_3) | instskip(SKIP_2) | instid1(VALU_DEP_1)
	v_mul_u64_e32 v[6:7], s[4:5], v[0:1]
	v_mov_b32_e32 v1, v11
	v_lshlrev_b64_e32 v[14:15], 2, v[10:11]
	v_lshl_add_u64 v[6:7], v[6:7], 2, v[14:15]
	s_wait_loadcnt 0x0
	v_and_b32_e32 v0, 0xffff, v8
	s_delay_alu instid0(VALU_DEP_1) | instskip(SKIP_2) | instid1(VALU_DEP_2)
	v_dual_mov_b32 v13, v11 :: v_dual_lshlrev_b32 v10, 2, v0
	v_mul_u64_e32 v[8:9], s[4:5], v[0:1]
	s_load_b128 s[4:7], s[0:1], 0x0
	v_lshl_add_u64 v[4:5], v[4:5], 2, v[12:13]
	s_wait_xcnt 0x0
	s_lshl_b64 s[0:1], s[2:3], 2
	s_wait_kmcnt 0x0
	s_add_nc_u64 s[0:1], s[4:5], s[0:1]
	v_add_nc_u64_e32 v[6:7], s[6:7], v[6:7]
	v_add_nc_u64_e32 v[4:5], s[0:1], v[4:5]
	s_delay_alu instid0(VALU_DEP_4)
	v_lshlrev_b64_e32 v[8:9], 2, v[8:9]
.LBB3_2:                                ; =>This Inner Loop Header: Depth=1
	global_load_b32 v12, v[6:7], off
	v_add_nc_u64_e32 v[2:3], v[2:3], v[0:1]
	s_wait_xcnt 0x0
	v_add_nc_u64_e32 v[6:7], v[6:7], v[8:9]
	s_delay_alu instid0(VALU_DEP_2)
	v_cmp_lt_u64_e32 vcc_lo, 63, v[2:3]
	s_or_b32 s3, vcc_lo, s3
	s_wait_loadcnt 0x0
	global_store_b32 v[4:5], v12, off
	s_wait_xcnt 0x0
	v_add_nc_u64_e32 v[4:5], v[4:5], v[10:11]
	s_and_not1_b32 exec_lo, exec_lo, s3
	s_cbranch_execnz .LBB3_2
.LBB3_3:
	s_endpgm
	.section	.rodata,"a",@progbits
	.p2align	6, 0x0
	.amdhsa_kernel _Z14transposeNaiveIfEvPT_PKS0_m
		.amdhsa_group_segment_fixed_size 0
		.amdhsa_private_segment_fixed_size 0
		.amdhsa_kernarg_size 280
		.amdhsa_user_sgpr_count 2
		.amdhsa_user_sgpr_dispatch_ptr 0
		.amdhsa_user_sgpr_queue_ptr 0
		.amdhsa_user_sgpr_kernarg_segment_ptr 1
		.amdhsa_user_sgpr_dispatch_id 0
		.amdhsa_user_sgpr_kernarg_preload_length 0
		.amdhsa_user_sgpr_kernarg_preload_offset 0
		.amdhsa_user_sgpr_private_segment_size 0
		.amdhsa_wavefront_size32 1
		.amdhsa_uses_dynamic_stack 0
		.amdhsa_enable_private_segment 0
		.amdhsa_system_sgpr_workgroup_id_x 1
		.amdhsa_system_sgpr_workgroup_id_y 1
		.amdhsa_system_sgpr_workgroup_id_z 0
		.amdhsa_system_sgpr_workgroup_info 0
		.amdhsa_system_vgpr_workitem_id 1
		.amdhsa_next_free_vgpr 16
		.amdhsa_next_free_sgpr 10
		.amdhsa_named_barrier_count 0
		.amdhsa_reserve_vcc 1
		.amdhsa_float_round_mode_32 0
		.amdhsa_float_round_mode_16_64 0
		.amdhsa_float_denorm_mode_32 3
		.amdhsa_float_denorm_mode_16_64 3
		.amdhsa_fp16_overflow 0
		.amdhsa_memory_ordered 1
		.amdhsa_forward_progress 1
		.amdhsa_inst_pref_size 3
		.amdhsa_round_robin_scheduling 0
		.amdhsa_exception_fp_ieee_invalid_op 0
		.amdhsa_exception_fp_denorm_src 0
		.amdhsa_exception_fp_ieee_div_zero 0
		.amdhsa_exception_fp_ieee_overflow 0
		.amdhsa_exception_fp_ieee_underflow 0
		.amdhsa_exception_fp_ieee_inexact 0
		.amdhsa_exception_int_div_zero 0
	.end_amdhsa_kernel
	.section	.text._Z14transposeNaiveIfEvPT_PKS0_m,"axG",@progbits,_Z14transposeNaiveIfEvPT_PKS0_m,comdat
.Lfunc_end3:
	.size	_Z14transposeNaiveIfEvPT_PKS0_m, .Lfunc_end3-_Z14transposeNaiveIfEvPT_PKS0_m
                                        ; -- End function
	.set _Z14transposeNaiveIfEvPT_PKS0_m.num_vgpr, 16
	.set _Z14transposeNaiveIfEvPT_PKS0_m.num_agpr, 0
	.set _Z14transposeNaiveIfEvPT_PKS0_m.numbered_sgpr, 10
	.set _Z14transposeNaiveIfEvPT_PKS0_m.num_named_barrier, 0
	.set _Z14transposeNaiveIfEvPT_PKS0_m.private_seg_size, 0
	.set _Z14transposeNaiveIfEvPT_PKS0_m.uses_vcc, 1
	.set _Z14transposeNaiveIfEvPT_PKS0_m.uses_flat_scratch, 0
	.set _Z14transposeNaiveIfEvPT_PKS0_m.has_dyn_sized_stack, 0
	.set _Z14transposeNaiveIfEvPT_PKS0_m.has_recursion, 0
	.set _Z14transposeNaiveIfEvPT_PKS0_m.has_indirect_call, 0
	.section	.AMDGPU.csdata,"",@progbits
; Kernel info:
; codeLenInByte = 336
; TotalNumSgprs: 12
; NumVgprs: 16
; ScratchSize: 0
; MemoryBound: 0
; FloatMode: 240
; IeeeMode: 1
; LDSByteSize: 0 bytes/workgroup (compile time only)
; SGPRBlocks: 0
; VGPRBlocks: 0
; NumSGPRsForWavesPerEU: 12
; NumVGPRsForWavesPerEU: 16
; NamedBarCnt: 0
; Occupancy: 16
; WaveLimiterHint : 0
; COMPUTE_PGM_RSRC2:SCRATCH_EN: 0
; COMPUTE_PGM_RSRC2:USER_SGPR: 2
; COMPUTE_PGM_RSRC2:TRAP_HANDLER: 0
; COMPUTE_PGM_RSRC2:TGID_X_EN: 1
; COMPUTE_PGM_RSRC2:TGID_Y_EN: 1
; COMPUTE_PGM_RSRC2:TGID_Z_EN: 0
; COMPUTE_PGM_RSRC2:TIDIG_COMP_CNT: 1
	.section	.text._Z27transposeLdsNoBankConflictsIfEvPT_PKS0_m,"axG",@progbits,_Z27transposeLdsNoBankConflictsIfEvPT_PKS0_m,comdat
	.protected	_Z27transposeLdsNoBankConflictsIfEvPT_PKS0_m ; -- Begin function _Z27transposeLdsNoBankConflictsIfEvPT_PKS0_m
	.globl	_Z27transposeLdsNoBankConflictsIfEvPT_PKS0_m
	.p2align	8
	.type	_Z27transposeLdsNoBankConflictsIfEvPT_PKS0_m,@function
_Z27transposeLdsNoBankConflictsIfEvPT_PKS0_m: ; @_Z27transposeLdsNoBankConflictsIfEvPT_PKS0_m
; %bb.0:
	s_bfe_u32 s3, ttmp6, 0x4000c
	s_bfe_u32 s6, ttmp6, 0x40010
	s_add_co_i32 s3, s3, 1
	s_add_co_i32 s6, s6, 1
	s_and_b32 s2, ttmp6, 15
	s_bfe_u32 s7, ttmp6, 0x40004
	s_mul_i32 s3, ttmp9, s3
	s_mul_i32 s6, ttmp7, s6
	s_getreg_b32 s8, hwreg(HW_REG_IB_STS2, 6, 4)
	s_add_co_i32 s2, s2, s3
	s_add_co_i32 s7, s7, s6
	s_cmp_eq_u32 s8, 0
	v_bfe_u32 v5, v0, 10, 10
	s_cselect_b32 s3, ttmp7, s7
	s_cselect_b32 s6, ttmp9, s2
	s_lshl_b32 s16, s3, 6
	s_delay_alu instid0(VALU_DEP_1) | instid1(SALU_CYCLE_1)
	v_dual_mov_b32 v1, 0 :: v_dual_add_nc_u32 v2, s16, v5
	s_load_b64 s[4:5], s[0:1], 0x10
	v_and_b32_e32 v6, 0x3ff, v0
	s_lshl_b32 s18, s6, 6
	global_load_u16 v4, v1, s[0:1] offset:38
	v_mov_b32_e32 v3, v1
	s_wait_xcnt 0x0
	s_load_b128 s[0:3], s[0:1], 0x0
	v_dual_lshlrev_b32 v7, 2, v6 :: v_dual_add_nc_u32 v0, s18, v6
	s_mov_b32 s7, 0
	s_mov_b32 s8, -1
	s_delay_alu instid0(VALU_DEP_1) | instskip(SKIP_2) | instid1(VALU_DEP_1)
	v_mad_u32_u24 v7, 0x104, v5, v7
	s_wait_kmcnt 0x0
	v_mul_u64_e32 v[2:3], s[4:5], v[2:3]
	v_lshl_add_u64 v[2:3], v[2:3], 2, s[2:3]
	s_delay_alu instid0(VALU_DEP_1) | instskip(SKIP_3) | instid1(SALU_CYCLE_1)
	v_lshl_add_u64 v[0:1], v[0:1], 2, v[2:3]
	s_wait_loadcnt 0x0
	v_readfirstlane_b32 s6, v4
	s_and_b32 s6, s6, 0xffff
	s_cmp_lg_u32 s6, 1
	s_mul_u64 s[2:3], s[4:5], s[6:7]
	s_cselect_b32 s17, -1, 0
	s_cmp_eq_u32 s6, 1
	s_cbranch_scc1 .LBB4_4
; %bb.1:
	v_mov_b64_e32 v[2:3], v[0:1]
	v_mov_b32_e32 v8, v7
	s_lshl_b64 s[8:9], s[2:3], 2
	s_mul_i32 s12, s6, 0x104
	s_mov_b64 s[10:11], 0
.LBB4_2:                                ; =>This Inner Loop Header: Depth=1
	global_load_b32 v9, v[2:3], off
	s_add_nc_u64 s[10:11], s[10:11], s[6:7]
	s_wait_xcnt 0x0
	v_add_nc_u64_e32 v[2:3], s[8:9], v[2:3]
	v_cmp_gt_u64_e64 s13, s[10:11], 63
	s_and_b32 vcc_lo, exec_lo, s13
	s_wait_loadcnt 0x0
	ds_store_b32 v8, v9
	v_add_nc_u32_e32 v8, s12, v8
	s_cbranch_vccz .LBB4_2
; %bb.3:
	s_mov_b32 s8, 0
.LBB4_4:
	s_delay_alu instid0(SALU_CYCLE_1)
	s_and_b32 vcc_lo, exec_lo, s8
	s_cbranch_vccz .LBB4_7
; %bb.5:
	s_mov_b32 s8, s4
	s_mov_b32 s9, s5
	s_mov_b64 s[10:11], 1
	s_mov_b64 s[12:13], 0
	;; [unrolled: 1-line block ×3, first 2 shown]
.LBB4_6:                                ; =>This Inner Loop Header: Depth=1
	s_mul_u64 s[20:21], s[10:11], s[8:9]
	s_mul_u64 s[22:23], s[12:13], s[4:5]
	s_add_nc_u64 s[24:25], s[12:13], 2
	s_add_nc_u64 s[26:27], s[10:11], 2
	v_lshl_add_u64 v[2:3], s[22:23], 2, v[0:1]
	v_lshl_add_u64 v[8:9], s[20:21], 2, v[0:1]
	s_mul_u64 s[20:21], s[24:25], s[4:5]
	s_mul_u64 s[22:23], s[26:27], s[8:9]
	v_lshl_add_u64 v[10:11], s[20:21], 2, v[0:1]
	v_lshl_add_u64 v[12:13], s[22:23], 2, v[0:1]
	s_clause 0x3
	global_load_b32 v14, v[2:3], off
	global_load_b32 v15, v[8:9], off
	;; [unrolled: 1-line block ×4, first 2 shown]
	s_wait_xcnt 0x3
	v_mad_u32 v2, 0x104, s12, v7
	v_mad_u32 v3, 0x104, s10, v7
	s_wait_xcnt 0x2
	v_mad_u32 v8, 0x104, s24, v7
	v_mad_u32 v9, 0x104, s26, v7
	s_add_nc_u64 s[14:15], s[14:15], -4
	s_add_nc_u64 s[12:13], s[12:13], 4
	s_add_nc_u64 s[10:11], s[10:11], 4
	s_cmp_eq_u64 s[14:15], 0
	s_wait_loadcnt 0x3
	ds_store_b32 v2, v14
	s_wait_loadcnt 0x2
	ds_store_b32 v3, v15
	;; [unrolled: 2-line block ×4, first 2 shown]
	s_cbranch_scc0 .LBB4_6
.LBB4_7:
	v_dual_mov_b32 v1, 0 :: v_dual_add_nc_u32 v0, s18, v5
	s_and_not1_b32 vcc_lo, exec_lo, s17
	s_wait_dscnt 0x0
	s_barrier_signal -1
	v_lshlrev_b32_e32 v5, 2, v5
	v_mul_u64_e32 v[2:3], s[4:5], v[0:1]
	v_add_nc_u32_e32 v0, s16, v6
	s_barrier_wait -1
	s_delay_alu instid0(VALU_DEP_3) | instskip(NEXT) | instid1(VALU_DEP_3)
	v_mad_u32_u24 v5, 0x104, v6, v5
	v_lshl_add_u64 v[2:3], v[2:3], 2, s[0:1]
	s_mov_b32 s0, -1
	s_delay_alu instid0(VALU_DEP_1)
	v_lshl_add_u64 v[0:1], v[0:1], 2, v[2:3]
	s_cbranch_vccnz .LBB4_11
; %bb.8:
	v_and_b32_e32 v2, 0xffff, v4
	v_mov_b32_e32 v4, v5
	s_lshl_b64 s[0:1], s[2:3], 2
	s_mov_b64 s[2:3], 0
	s_delay_alu instid0(VALU_DEP_2)
	v_lshlrev_b32_e32 v6, 2, v2
	v_mov_b64_e32 v[2:3], v[0:1]
.LBB4_9:                                ; =>This Inner Loop Header: Depth=1
	ds_load_b32 v7, v4
	s_add_nc_u64 s[2:3], s[2:3], s[6:7]
	v_add_nc_u32_e32 v4, v4, v6
	v_cmp_gt_u64_e64 s8, s[2:3], 63
	s_and_b32 vcc_lo, exec_lo, s8
	s_wait_dscnt 0x0
	global_store_b32 v[2:3], v7, off
	s_wait_xcnt 0x0
	v_add_nc_u64_e32 v[2:3], s[0:1], v[2:3]
	s_cbranch_vccz .LBB4_9
; %bb.10:
	s_mov_b32 s0, 0
.LBB4_11:
	s_delay_alu instid0(SALU_CYCLE_1)
	s_and_b32 vcc_lo, exec_lo, s0
	s_cbranch_vccz .LBB4_14
; %bb.12:
	s_mov_b32 s0, s4
	s_mov_b32 s1, s5
	s_mov_b64 s[2:3], 1
	s_mov_b64 s[6:7], 0
	s_mov_b64 s[8:9], 64
.LBB4_13:                               ; =>This Inner Loop Header: Depth=1
	s_wait_xcnt 0x2
	ds_load_2addr_b32 v[2:3], v5 offset1:1
	s_wait_xcnt 0x0
	ds_load_2addr_b32 v[6:7], v5 offset0:2 offset1:3
	s_mul_u64 s[10:11], s[2:3], s[0:1]
	s_mul_u64 s[12:13], s[6:7], s[4:5]
	s_add_nc_u64 s[14:15], s[6:7], 2
	s_add_nc_u64 s[16:17], s[2:3], 2
	v_add_nc_u32_e32 v5, 16, v5
	v_lshl_add_u64 v[8:9], s[12:13], 2, v[0:1]
	v_lshl_add_u64 v[10:11], s[10:11], 2, v[0:1]
	s_mul_u64 s[10:11], s[14:15], s[4:5]
	s_add_nc_u64 s[8:9], s[8:9], -4
	s_mul_u64 s[12:13], s[16:17], s[0:1]
	v_lshl_add_u64 v[12:13], s[10:11], 2, v[0:1]
	s_add_nc_u64 s[6:7], s[6:7], 4
	s_add_nc_u64 s[2:3], s[2:3], 4
	v_lshl_add_u64 v[14:15], s[12:13], 2, v[0:1]
	s_cmp_eq_u64 s[8:9], 0
	s_wait_dscnt 0x1
	s_clause 0x1
	global_store_b32 v[8:9], v2, off
	global_store_b32 v[10:11], v3, off
	s_wait_dscnt 0x0
	s_clause 0x1
	global_store_b32 v[12:13], v6, off
	global_store_b32 v[14:15], v7, off
	s_cbranch_scc0 .LBB4_13
.LBB4_14:
	s_endpgm
	.section	.rodata,"a",@progbits
	.p2align	6, 0x0
	.amdhsa_kernel _Z27transposeLdsNoBankConflictsIfEvPT_PKS0_m
		.amdhsa_group_segment_fixed_size 16640
		.amdhsa_private_segment_fixed_size 0
		.amdhsa_kernarg_size 280
		.amdhsa_user_sgpr_count 2
		.amdhsa_user_sgpr_dispatch_ptr 0
		.amdhsa_user_sgpr_queue_ptr 0
		.amdhsa_user_sgpr_kernarg_segment_ptr 1
		.amdhsa_user_sgpr_dispatch_id 0
		.amdhsa_user_sgpr_kernarg_preload_length 0
		.amdhsa_user_sgpr_kernarg_preload_offset 0
		.amdhsa_user_sgpr_private_segment_size 0
		.amdhsa_wavefront_size32 1
		.amdhsa_uses_dynamic_stack 0
		.amdhsa_enable_private_segment 0
		.amdhsa_system_sgpr_workgroup_id_x 1
		.amdhsa_system_sgpr_workgroup_id_y 1
		.amdhsa_system_sgpr_workgroup_id_z 0
		.amdhsa_system_sgpr_workgroup_info 0
		.amdhsa_system_vgpr_workitem_id 1
		.amdhsa_next_free_vgpr 18
		.amdhsa_next_free_sgpr 28
		.amdhsa_named_barrier_count 0
		.amdhsa_reserve_vcc 1
		.amdhsa_float_round_mode_32 0
		.amdhsa_float_round_mode_16_64 0
		.amdhsa_float_denorm_mode_32 3
		.amdhsa_float_denorm_mode_16_64 3
		.amdhsa_fp16_overflow 0
		.amdhsa_memory_ordered 1
		.amdhsa_forward_progress 1
		.amdhsa_inst_pref_size 8
		.amdhsa_round_robin_scheduling 0
		.amdhsa_exception_fp_ieee_invalid_op 0
		.amdhsa_exception_fp_denorm_src 0
		.amdhsa_exception_fp_ieee_div_zero 0
		.amdhsa_exception_fp_ieee_overflow 0
		.amdhsa_exception_fp_ieee_underflow 0
		.amdhsa_exception_fp_ieee_inexact 0
		.amdhsa_exception_int_div_zero 0
	.end_amdhsa_kernel
	.section	.text._Z27transposeLdsNoBankConflictsIfEvPT_PKS0_m,"axG",@progbits,_Z27transposeLdsNoBankConflictsIfEvPT_PKS0_m,comdat
.Lfunc_end4:
	.size	_Z27transposeLdsNoBankConflictsIfEvPT_PKS0_m, .Lfunc_end4-_Z27transposeLdsNoBankConflictsIfEvPT_PKS0_m
                                        ; -- End function
	.set _Z27transposeLdsNoBankConflictsIfEvPT_PKS0_m.num_vgpr, 18
	.set _Z27transposeLdsNoBankConflictsIfEvPT_PKS0_m.num_agpr, 0
	.set _Z27transposeLdsNoBankConflictsIfEvPT_PKS0_m.numbered_sgpr, 28
	.set _Z27transposeLdsNoBankConflictsIfEvPT_PKS0_m.num_named_barrier, 0
	.set _Z27transposeLdsNoBankConflictsIfEvPT_PKS0_m.private_seg_size, 0
	.set _Z27transposeLdsNoBankConflictsIfEvPT_PKS0_m.uses_vcc, 1
	.set _Z27transposeLdsNoBankConflictsIfEvPT_PKS0_m.uses_flat_scratch, 0
	.set _Z27transposeLdsNoBankConflictsIfEvPT_PKS0_m.has_dyn_sized_stack, 0
	.set _Z27transposeLdsNoBankConflictsIfEvPT_PKS0_m.has_recursion, 0
	.set _Z27transposeLdsNoBankConflictsIfEvPT_PKS0_m.has_indirect_call, 0
	.section	.AMDGPU.csdata,"",@progbits
; Kernel info:
; codeLenInByte = 964
; TotalNumSgprs: 30
; NumVgprs: 18
; ScratchSize: 0
; MemoryBound: 0
; FloatMode: 240
; IeeeMode: 1
; LDSByteSize: 16640 bytes/workgroup (compile time only)
; SGPRBlocks: 0
; VGPRBlocks: 1
; NumSGPRsForWavesPerEU: 30
; NumVGPRsForWavesPerEU: 18
; NamedBarCnt: 0
; Occupancy: 16
; WaveLimiterHint : 0
; COMPUTE_PGM_RSRC2:SCRATCH_EN: 0
; COMPUTE_PGM_RSRC2:USER_SGPR: 2
; COMPUTE_PGM_RSRC2:TRAP_HANDLER: 0
; COMPUTE_PGM_RSRC2:TGID_X_EN: 1
; COMPUTE_PGM_RSRC2:TGID_Y_EN: 1
; COMPUTE_PGM_RSRC2:TGID_Z_EN: 0
; COMPUTE_PGM_RSRC2:TIDIG_COMP_CNT: 1
	.section	.text._Z23transposeLdsSwapInplaceIfEvPT_PKS0_m,"axG",@progbits,_Z23transposeLdsSwapInplaceIfEvPT_PKS0_m,comdat
	.protected	_Z23transposeLdsSwapInplaceIfEvPT_PKS0_m ; -- Begin function _Z23transposeLdsSwapInplaceIfEvPT_PKS0_m
	.globl	_Z23transposeLdsSwapInplaceIfEvPT_PKS0_m
	.p2align	8
	.type	_Z23transposeLdsSwapInplaceIfEvPT_PKS0_m,@function
_Z23transposeLdsSwapInplaceIfEvPT_PKS0_m: ; @_Z23transposeLdsSwapInplaceIfEvPT_PKS0_m
; %bb.0:
	s_clause 0x1
	s_load_b128 s[4:7], s[0:1], 0x0
	s_load_b64 s[8:9], s[0:1], 0x10
	s_bfe_u32 s2, ttmp6, 0x4000c
	v_and_b32_e32 v6, 0x3ff, v0
	s_add_co_i32 s2, s2, 1
	v_mov_b32_e32 v9, 0
	v_bfe_u32 v0, v0, 10, 10
	s_and_b32 s10, ttmp6, 15
	s_mul_i32 s2, ttmp9, s2
	s_getreg_b32 s3, hwreg(HW_REG_IB_STS2, 6, 4)
	s_add_co_i32 s10, s10, s2
	s_cmp_eq_u32 s3, 0
	v_dual_mov_b32 v1, v9 :: v_dual_lshlrev_b32 v18, 2, v6
	v_cmp_gt_u32_e32 vcc_lo, 64, v0
	s_cselect_b32 s2, ttmp9, s10
	s_mov_b32 s15, 0
	s_lshl_b32 s10, s2, 6
	s_and_saveexec_b32 s11, vcc_lo
	s_cbranch_execz .LBB5_8
; %bb.1:
	global_load_u16 v2, v9, s[0:1] offset:38
	s_bfe_u32 s2, ttmp6, 0x40010
	s_bfe_u32 s12, ttmp6, 0x40004
	s_add_co_i32 s2, s2, 1
	v_add_nc_u32_e32 v8, s10, v6
	s_mul_i32 s2, ttmp7, s2
	s_delay_alu instid0(SALU_CYCLE_1) | instskip(SKIP_3) | instid1(SALU_CYCLE_1)
	s_add_co_i32 s12, s12, s2
	s_cmp_eq_u32 s3, 0
	v_cmp_ne_u32_e64 s2, 63, v0
	s_cselect_b32 s14, ttmp7, s12
	s_lshl_b32 s14, s14, 6
	s_wait_loadcnt 0x0
	v_readfirstlane_b32 s13, v2
	v_mov_b64_e32 v[2:3], v[0:1]
	s_and_b32 s12, 0xffff, s13
	s_delay_alu instid0(SALU_CYCLE_1) | instskip(SKIP_1) | instid1(SALU_CYCLE_1)
	s_cmp_eq_u32 s12, 1
	s_cselect_b32 s13, -1, 0
	s_and_b32 s16, s2, s13
	s_mov_b32 s2, -1
	s_and_saveexec_b32 s13, s16
	s_cbranch_execz .LBB5_5
; %bb.2:
	v_sub_nc_u64_e32 v[10:11], 64, v[0:1]
	v_dual_mov_b32 v13, 0 :: v_dual_add_nc_u32 v2, 1, v0
	s_wait_kmcnt 0x0
	v_lshl_add_u64 v[14:15], v[8:9], 2, s[6:7]
	s_mov_b32 s20, 0
	s_mov_b32 s16, s14
	v_mov_b32_e32 v3, v13
	v_and_b32_e32 v12, 0x7e, v10
	s_mov_b32 s17, s15
	s_mov_b32 s18, s8
	s_mov_b32 s19, s9
	v_mov_b64_e32 v[4:5], v[2:3]
	v_mov_b64_e32 v[16:17], v[12:13]
	;; [unrolled: 1-line block ×3, first 2 shown]
.LBB5_3:                                ; =>This Inner Loop Header: Depth=1
	s_delay_alu instid0(VALU_DEP_1) | instskip(NEXT) | instid1(VALU_DEP_4)
	v_add_nc_u64_e32 v[20:21], s[14:15], v[2:3]
	v_add_nc_u64_e32 v[22:23], s[16:17], v[4:5]
	s_delay_alu instid0(VALU_DEP_4) | instskip(NEXT) | instid1(VALU_DEP_3)
	v_add_nc_u64_e32 v[16:17], -2, v[16:17]
	v_mul_u64_e32 v[20:21], s[8:9], v[20:21]
	s_delay_alu instid0(VALU_DEP_3) | instskip(NEXT) | instid1(VALU_DEP_3)
	v_mul_u64_e32 v[22:23], s[18:19], v[22:23]
	v_cmp_eq_u64_e64 s2, 0, v[16:17]
	s_or_b32 s20, s2, s20
	v_lshl_add_u64 v[20:21], v[20:21], 2, v[14:15]
	v_lshl_add_u64 v[22:23], v[22:23], 2, v[14:15]
	s_clause 0x1
	global_load_b32 v7, v[20:21], off
	global_load_b32 v19, v[22:23], off
	s_wait_xcnt 0x1
	v_lshl_add_u32 v20, v2, 8, v18
	v_lshl_add_u32 v21, v4, 8, v18
	v_add_nc_u64_e32 v[4:5], 2, v[4:5]
	v_add_nc_u64_e32 v[2:3], 2, v[2:3]
	s_wait_loadcnt 0x1
	ds_store_b32 v20, v7
	s_wait_loadcnt 0x0
	ds_store_b32 v21, v19
	s_wait_xcnt 0x0
	s_and_not1_b32 exec_lo, exec_lo, s20
	s_cbranch_execnz .LBB5_3
; %bb.4:
	s_or_b32 exec_lo, exec_lo, s20
	v_cmp_ne_u64_e64 s2, v[10:11], v[12:13]
	v_dual_mov_b32 v3, 0 :: v_dual_add_nc_u32 v2, v12, v0
	s_or_not1_b32 s2, s2, exec_lo
.LBB5_5:
	s_or_b32 exec_lo, exec_lo, s13
	s_delay_alu instid0(SALU_CYCLE_1)
	s_and_b32 exec_lo, exec_lo, s2
	s_cbranch_execz .LBB5_8
; %bb.6:
	v_add_nc_u64_e32 v[4:5], s[14:15], v[2:3]
	v_lshlrev_b64_e32 v[8:9], 2, v[8:9]
	s_mov_b32 s13, 0
	v_lshl_add_u32 v7, v2, 8, v18
	s_lshl_b32 s14, s12, 8
	s_mov_b32 s15, s13
	s_wait_kmcnt 0x0
	v_mul_u64_e32 v[4:5], s[8:9], v[4:5]
	s_delay_alu instid0(VALU_DEP_1) | instskip(NEXT) | instid1(VALU_DEP_1)
	v_lshl_add_u64 v[4:5], v[4:5], 2, v[8:9]
	v_add_nc_u64_e32 v[4:5], s[6:7], v[4:5]
	s_mul_u64 s[6:7], s[8:9], s[12:13]
	s_delay_alu instid0(SALU_CYCLE_1)
	s_lshl_b64 s[6:7], s[6:7], 2
.LBB5_7:                                ; =>This Inner Loop Header: Depth=1
	global_load_b32 v8, v[4:5], off
	v_add_nc_u64_e32 v[2:3], s[12:13], v[2:3]
	s_wait_xcnt 0x0
	v_add_nc_u64_e32 v[4:5], s[6:7], v[4:5]
	s_delay_alu instid0(VALU_DEP_2)
	v_cmp_lt_u64_e64 s2, 63, v[2:3]
	s_or_b32 s15, s2, s15
	s_wait_loadcnt 0x0
	ds_store_b32 v7, v8
	v_add_nc_u32_e32 v7, s14, v7
	s_and_not1_b32 exec_lo, exec_lo, s15
	s_cbranch_execnz .LBB5_7
.LBB5_8:
	s_or_b32 exec_lo, exec_lo, s11
	s_wait_dscnt 0x0
	s_barrier_signal -1
	s_barrier_wait -1
	s_wait_kmcnt 0x0
	s_and_saveexec_b32 s6, vcc_lo
	s_cbranch_execz .LBB5_13
; %bb.9:
	v_dual_mov_b32 v7, 0 :: v_dual_lshlrev_b32 v5, 2, v0
	v_mul_u32_u24_e32 v4, 0xfc, v6
	v_lshl_add_u32 v8, v0, 8, v18
	s_mov_b32 s7, 0
	global_load_u16 v2, v7, s[0:1] offset:38
	v_add3_u32 v9, v4, v18, v5
	v_mov_b64_e32 v[4:5], v[0:1]
	s_wait_loadcnt 0x0
	v_and_b32_e32 v2, 0xffff, v2
	s_delay_alu instid0(VALU_DEP_1)
	v_dual_mov_b32 v3, v7 :: v_dual_lshlrev_b32 v10, 8, v2
	v_lshlrev_b32_e32 v11, 2, v2
	s_branch .LBB5_11
.LBB5_10:                               ;   in Loop: Header=BB5_11 Depth=1
	s_or_b32 exec_lo, exec_lo, s11
	v_add_nc_u64_e32 v[4:5], v[4:5], v[2:3]
	v_dual_add_nc_u32 v8, v8, v10 :: v_dual_add_nc_u32 v9, v9, v11
	s_delay_alu instid0(VALU_DEP_2) | instskip(SKIP_1) | instid1(SALU_CYCLE_1)
	v_cmp_lt_u64_e64 s2, 63, v[4:5]
	s_or_b32 s7, s2, s7
	s_and_not1_b32 exec_lo, exec_lo, s7
	s_cbranch_execz .LBB5_13
.LBB5_11:                               ; =>This Inner Loop Header: Depth=1
	s_mov_b32 s11, exec_lo
	v_cmpx_lt_u64_e64 v[4:5], v[6:7]
	s_cbranch_execz .LBB5_10
; %bb.12:                               ;   in Loop: Header=BB5_11 Depth=1
	ds_load_b32 v12, v9
	ds_load_b32 v13, v8
	s_wait_dscnt 0x1
	ds_store_b32 v8, v12
	s_wait_dscnt 0x1
	ds_store_b32 v9, v13
	s_branch .LBB5_10
.LBB5_13:
	s_or_b32 exec_lo, exec_lo, s6
	s_wait_dscnt 0x0
	s_barrier_signal -1
	s_barrier_wait -1
	s_and_saveexec_b32 s2, vcc_lo
	s_cbranch_execz .LBB5_21
; %bb.14:
	v_mov_b32_e32 v7, 0
	v_cmp_ne_u32_e32 vcc_lo, 63, v0
	s_mov_b32 s11, 0
	global_load_u16 v2, v7, s[0:1] offset:38
	s_wait_xcnt 0x0
	s_bfe_u32 s0, ttmp6, 0x40010
	s_bfe_u32 s1, ttmp6, 0x40004
	s_add_co_i32 s0, s0, 1
	s_delay_alu instid0(SALU_CYCLE_1) | instskip(NEXT) | instid1(SALU_CYCLE_1)
	s_mul_i32 s0, ttmp7, s0
	s_add_co_i32 s1, s1, s0
	s_cmp_eq_u32 s3, 0
	s_cselect_b32 s1, ttmp7, s1
	s_delay_alu instid0(SALU_CYCLE_1)
	v_lshl_add_u32 v6, s1, 6, v6
	s_wait_loadcnt 0x0
	v_readfirstlane_b32 s2, v2
	s_and_b32 s0, 0xffff, s2
	s_mov_b32 s2, -1
	s_cmp_eq_u32 s0, 1
	s_cselect_b32 s1, -1, 0
	s_delay_alu instid0(SALU_CYCLE_1) | instskip(NEXT) | instid1(SALU_CYCLE_1)
	s_and_b32 s3, vcc_lo, s1
	s_and_saveexec_b32 s1, s3
	s_cbranch_execz .LBB5_18
; %bb.15:
	v_sub_nc_u64_e32 v[8:9], 64, v[0:1]
	v_dual_mov_b32 v11, v7 :: v_dual_add_nc_u32 v2, 1, v0
	v_mov_b32_e32 v3, v7
	v_lshl_add_u64 v[12:13], v[6:7], 2, s[4:5]
	s_mov_b32 s2, s10
	s_mov_b32 s3, s11
	s_delay_alu instid0(VALU_DEP_4)
	v_and_b32_e32 v10, 0x7e, v8
	v_mov_b64_e32 v[4:5], v[2:3]
	v_mov_b64_e32 v[2:3], v[0:1]
	s_mov_b32 s6, s8
	s_mov_b32 s7, s9
	v_mov_b64_e32 v[14:15], v[10:11]
	s_mov_b32 s12, s11
.LBB5_16:                               ; =>This Inner Loop Header: Depth=1
	s_delay_alu instid0(VALU_DEP_2)
	v_add_nc_u64_e32 v[16:17], s[10:11], v[2:3]
	v_add_nc_u64_e32 v[20:21], s[2:3], v[4:5]
	v_lshl_add_u32 v1, v2, 8, v18
	v_lshl_add_u32 v19, v4, 8, v18
	v_add_nc_u64_e32 v[14:15], -2, v[14:15]
	ds_load_b32 v1, v1
	ds_load_b32 v19, v19
	v_mul_u64_e32 v[16:17], s[8:9], v[16:17]
	v_mul_u64_e32 v[20:21], s[6:7], v[20:21]
	v_add_nc_u64_e32 v[4:5], 2, v[4:5]
	v_cmp_eq_u64_e32 vcc_lo, 0, v[14:15]
	v_add_nc_u64_e32 v[2:3], 2, v[2:3]
	s_or_b32 s12, vcc_lo, s12
	v_lshl_add_u64 v[16:17], v[16:17], 2, v[12:13]
	v_lshl_add_u64 v[20:21], v[20:21], 2, v[12:13]
	s_wait_dscnt 0x1
	global_store_b32 v[16:17], v1, off
	s_wait_dscnt 0x0
	global_store_b32 v[20:21], v19, off
	s_wait_xcnt 0x0
	s_and_not1_b32 exec_lo, exec_lo, s12
	s_cbranch_execnz .LBB5_16
; %bb.17:
	s_or_b32 exec_lo, exec_lo, s12
	v_cmp_ne_u64_e32 vcc_lo, v[8:9], v[10:11]
	v_dual_mov_b32 v1, 0 :: v_dual_add_nc_u32 v0, v10, v0
	s_or_not1_b32 s2, vcc_lo, exec_lo
.LBB5_18:
	s_or_b32 exec_lo, exec_lo, s1
	s_delay_alu instid0(SALU_CYCLE_1)
	s_and_b32 exec_lo, exec_lo, s2
	s_cbranch_execz .LBB5_21
; %bb.19:
	v_add_nc_u64_e32 v[2:3], s[10:11], v[0:1]
	v_lshlrev_b64_e32 v[4:5], 2, v[6:7]
	s_mov_b32 s1, 0
	s_delay_alu instid0(SALU_CYCLE_1) | instskip(NEXT) | instid1(SALU_CYCLE_1)
	s_mul_u64 s[2:3], s[8:9], s[0:1]
	s_lshl_b64 s[2:3], s[2:3], 2
	s_delay_alu instid0(VALU_DEP_2) | instskip(NEXT) | instid1(VALU_DEP_1)
	v_mul_u64_e32 v[2:3], s[8:9], v[2:3]
	v_lshl_add_u64 v[2:3], v[2:3], 2, v[4:5]
	v_lshl_add_u32 v4, v0, 8, v18
	s_delay_alu instid0(VALU_DEP_2)
	v_add_nc_u64_e32 v[2:3], s[4:5], v[2:3]
	s_lshl_b32 s4, s0, 8
	s_mov_b32 s5, s1
.LBB5_20:                               ; =>This Inner Loop Header: Depth=1
	ds_load_b32 v5, v4
	v_add_nc_u64_e32 v[0:1], s[0:1], v[0:1]
	v_add_nc_u32_e32 v4, s4, v4
	s_delay_alu instid0(VALU_DEP_2)
	v_cmp_lt_u64_e32 vcc_lo, 63, v[0:1]
	s_or_b32 s5, vcc_lo, s5
	s_wait_dscnt 0x0
	global_store_b32 v[2:3], v5, off
	s_wait_xcnt 0x0
	v_add_nc_u64_e32 v[2:3], s[2:3], v[2:3]
	s_and_not1_b32 exec_lo, exec_lo, s5
	s_cbranch_execnz .LBB5_20
.LBB5_21:
	s_endpgm
	.section	.rodata,"a",@progbits
	.p2align	6, 0x0
	.amdhsa_kernel _Z23transposeLdsSwapInplaceIfEvPT_PKS0_m
		.amdhsa_group_segment_fixed_size 16384
		.amdhsa_private_segment_fixed_size 0
		.amdhsa_kernarg_size 280
		.amdhsa_user_sgpr_count 2
		.amdhsa_user_sgpr_dispatch_ptr 0
		.amdhsa_user_sgpr_queue_ptr 0
		.amdhsa_user_sgpr_kernarg_segment_ptr 1
		.amdhsa_user_sgpr_dispatch_id 0
		.amdhsa_user_sgpr_kernarg_preload_length 0
		.amdhsa_user_sgpr_kernarg_preload_offset 0
		.amdhsa_user_sgpr_private_segment_size 0
		.amdhsa_wavefront_size32 1
		.amdhsa_uses_dynamic_stack 0
		.amdhsa_enable_private_segment 0
		.amdhsa_system_sgpr_workgroup_id_x 1
		.amdhsa_system_sgpr_workgroup_id_y 1
		.amdhsa_system_sgpr_workgroup_id_z 0
		.amdhsa_system_sgpr_workgroup_info 0
		.amdhsa_system_vgpr_workitem_id 1
		.amdhsa_next_free_vgpr 24
		.amdhsa_next_free_sgpr 21
		.amdhsa_named_barrier_count 0
		.amdhsa_reserve_vcc 1
		.amdhsa_float_round_mode_32 0
		.amdhsa_float_round_mode_16_64 0
		.amdhsa_float_denorm_mode_32 3
		.amdhsa_float_denorm_mode_16_64 3
		.amdhsa_fp16_overflow 0
		.amdhsa_memory_ordered 1
		.amdhsa_forward_progress 1
		.amdhsa_inst_pref_size 11
		.amdhsa_round_robin_scheduling 0
		.amdhsa_exception_fp_ieee_invalid_op 0
		.amdhsa_exception_fp_denorm_src 0
		.amdhsa_exception_fp_ieee_div_zero 0
		.amdhsa_exception_fp_ieee_overflow 0
		.amdhsa_exception_fp_ieee_underflow 0
		.amdhsa_exception_fp_ieee_inexact 0
		.amdhsa_exception_int_div_zero 0
	.end_amdhsa_kernel
	.section	.text._Z23transposeLdsSwapInplaceIfEvPT_PKS0_m,"axG",@progbits,_Z23transposeLdsSwapInplaceIfEvPT_PKS0_m,comdat
.Lfunc_end5:
	.size	_Z23transposeLdsSwapInplaceIfEvPT_PKS0_m, .Lfunc_end5-_Z23transposeLdsSwapInplaceIfEvPT_PKS0_m
                                        ; -- End function
	.set _Z23transposeLdsSwapInplaceIfEvPT_PKS0_m.num_vgpr, 24
	.set _Z23transposeLdsSwapInplaceIfEvPT_PKS0_m.num_agpr, 0
	.set _Z23transposeLdsSwapInplaceIfEvPT_PKS0_m.numbered_sgpr, 21
	.set _Z23transposeLdsSwapInplaceIfEvPT_PKS0_m.num_named_barrier, 0
	.set _Z23transposeLdsSwapInplaceIfEvPT_PKS0_m.private_seg_size, 0
	.set _Z23transposeLdsSwapInplaceIfEvPT_PKS0_m.uses_vcc, 1
	.set _Z23transposeLdsSwapInplaceIfEvPT_PKS0_m.uses_flat_scratch, 0
	.set _Z23transposeLdsSwapInplaceIfEvPT_PKS0_m.has_dyn_sized_stack, 0
	.set _Z23transposeLdsSwapInplaceIfEvPT_PKS0_m.has_recursion, 0
	.set _Z23transposeLdsSwapInplaceIfEvPT_PKS0_m.has_indirect_call, 0
	.section	.AMDGPU.csdata,"",@progbits
; Kernel info:
; codeLenInByte = 1340
; TotalNumSgprs: 23
; NumVgprs: 24
; ScratchSize: 0
; MemoryBound: 0
; FloatMode: 240
; IeeeMode: 1
; LDSByteSize: 16384 bytes/workgroup (compile time only)
; SGPRBlocks: 0
; VGPRBlocks: 1
; NumSGPRsForWavesPerEU: 23
; NumVGPRsForWavesPerEU: 24
; NamedBarCnt: 0
; Occupancy: 16
; WaveLimiterHint : 0
; COMPUTE_PGM_RSRC2:SCRATCH_EN: 0
; COMPUTE_PGM_RSRC2:USER_SGPR: 2
; COMPUTE_PGM_RSRC2:TRAP_HANDLER: 0
; COMPUTE_PGM_RSRC2:TGID_X_EN: 1
; COMPUTE_PGM_RSRC2:TGID_Y_EN: 1
; COMPUTE_PGM_RSRC2:TGID_Z_EN: 0
; COMPUTE_PGM_RSRC2:TIDIG_COMP_CNT: 1
	.section	.text._Z14transposeNaiveIdEvPT_PKS0_m,"axG",@progbits,_Z14transposeNaiveIdEvPT_PKS0_m,comdat
	.protected	_Z14transposeNaiveIdEvPT_PKS0_m ; -- Begin function _Z14transposeNaiveIdEvPT_PKS0_m
	.globl	_Z14transposeNaiveIdEvPT_PKS0_m
	.p2align	8
	.type	_Z14transposeNaiveIdEvPT_PKS0_m,@function
_Z14transposeNaiveIdEvPT_PKS0_m:        ; @_Z14transposeNaiveIdEvPT_PKS0_m
; %bb.0:
	v_bfe_u32 v2, v0, 10, 10
	s_mov_b32 s2, exec_lo
	s_delay_alu instid0(VALU_DEP_1)
	v_cmpx_gt_u32_e32 64, v2
	s_cbranch_execz .LBB6_3
; %bb.1:
	v_dual_mov_b32 v11, 0 :: v_dual_lshlrev_b32 v12, 3, v2
	s_load_b64 s[4:5], s[0:1], 0x10
	s_bfe_u32 s6, ttmp6, 0x4000c
	s_bfe_u32 s7, ttmp6, 0x40010
	global_load_u16 v8, v11, s[0:1] offset:38
	s_add_co_i32 s6, s6, 1
	s_add_co_i32 s7, s7, 1
	s_and_b32 s2, ttmp6, 15
	s_bfe_u32 s8, ttmp6, 0x40004
	s_mul_i32 s6, ttmp9, s6
	s_mul_i32 s7, ttmp7, s7
	s_getreg_b32 s9, hwreg(HW_REG_IB_STS2, 6, 4)
	s_add_co_i32 s2, s2, s6
	s_add_co_i32 s8, s8, s7
	s_cmp_eq_u32 s9, 0
	v_mov_b32_e32 v3, v11
	s_cselect_b32 s6, ttmp7, s8
	v_and_b32_e32 v4, 0x3ff, v0
	s_mov_b32 s3, 0
	s_cselect_b32 s7, ttmp9, s2
	s_lshl_b32 s2, s6, 6
	s_delay_alu instid0(SALU_CYCLE_1) | instskip(SKIP_2) | instid1(VALU_DEP_1)
	v_add_nc_u64_e32 v[0:1], s[2:3], v[2:3]
	v_lshl_add_u32 v10, s7, 6, v4
	s_wait_kmcnt 0x0
	v_mul_u64_e32 v[4:5], s[4:5], v[10:11]
	s_delay_alu instid0(VALU_DEP_3) | instskip(SKIP_2) | instid1(VALU_DEP_1)
	v_mul_u64_e32 v[6:7], s[4:5], v[0:1]
	v_mov_b32_e32 v1, v11
	v_lshlrev_b64_e32 v[14:15], 3, v[10:11]
	v_lshl_add_u64 v[6:7], v[6:7], 3, v[14:15]
	s_wait_loadcnt 0x0
	v_and_b32_e32 v0, 0xffff, v8
	s_delay_alu instid0(VALU_DEP_1) | instskip(SKIP_2) | instid1(VALU_DEP_2)
	v_dual_mov_b32 v13, v11 :: v_dual_lshlrev_b32 v10, 3, v0
	v_mul_u64_e32 v[8:9], s[4:5], v[0:1]
	s_load_b128 s[4:7], s[0:1], 0x0
	v_lshl_add_u64 v[4:5], v[4:5], 3, v[12:13]
	s_wait_xcnt 0x0
	s_lshl_b64 s[0:1], s[2:3], 3
	s_wait_kmcnt 0x0
	s_add_nc_u64 s[0:1], s[4:5], s[0:1]
	v_add_nc_u64_e32 v[6:7], s[6:7], v[6:7]
	v_add_nc_u64_e32 v[4:5], s[0:1], v[4:5]
	s_delay_alu instid0(VALU_DEP_4)
	v_lshlrev_b64_e32 v[8:9], 3, v[8:9]
.LBB6_2:                                ; =>This Inner Loop Header: Depth=1
	global_load_b64 v[12:13], v[6:7], off
	v_add_nc_u64_e32 v[2:3], v[2:3], v[0:1]
	s_wait_xcnt 0x0
	v_add_nc_u64_e32 v[6:7], v[6:7], v[8:9]
	s_delay_alu instid0(VALU_DEP_2)
	v_cmp_lt_u64_e32 vcc_lo, 63, v[2:3]
	s_or_b32 s3, vcc_lo, s3
	s_wait_loadcnt 0x0
	global_store_b64 v[4:5], v[12:13], off
	s_wait_xcnt 0x0
	v_add_nc_u64_e32 v[4:5], v[4:5], v[10:11]
	s_and_not1_b32 exec_lo, exec_lo, s3
	s_cbranch_execnz .LBB6_2
.LBB6_3:
	s_endpgm
	.section	.rodata,"a",@progbits
	.p2align	6, 0x0
	.amdhsa_kernel _Z14transposeNaiveIdEvPT_PKS0_m
		.amdhsa_group_segment_fixed_size 0
		.amdhsa_private_segment_fixed_size 0
		.amdhsa_kernarg_size 280
		.amdhsa_user_sgpr_count 2
		.amdhsa_user_sgpr_dispatch_ptr 0
		.amdhsa_user_sgpr_queue_ptr 0
		.amdhsa_user_sgpr_kernarg_segment_ptr 1
		.amdhsa_user_sgpr_dispatch_id 0
		.amdhsa_user_sgpr_kernarg_preload_length 0
		.amdhsa_user_sgpr_kernarg_preload_offset 0
		.amdhsa_user_sgpr_private_segment_size 0
		.amdhsa_wavefront_size32 1
		.amdhsa_uses_dynamic_stack 0
		.amdhsa_enable_private_segment 0
		.amdhsa_system_sgpr_workgroup_id_x 1
		.amdhsa_system_sgpr_workgroup_id_y 1
		.amdhsa_system_sgpr_workgroup_id_z 0
		.amdhsa_system_sgpr_workgroup_info 0
		.amdhsa_system_vgpr_workitem_id 1
		.amdhsa_next_free_vgpr 16
		.amdhsa_next_free_sgpr 10
		.amdhsa_named_barrier_count 0
		.amdhsa_reserve_vcc 1
		.amdhsa_float_round_mode_32 0
		.amdhsa_float_round_mode_16_64 0
		.amdhsa_float_denorm_mode_32 3
		.amdhsa_float_denorm_mode_16_64 3
		.amdhsa_fp16_overflow 0
		.amdhsa_memory_ordered 1
		.amdhsa_forward_progress 1
		.amdhsa_inst_pref_size 3
		.amdhsa_round_robin_scheduling 0
		.amdhsa_exception_fp_ieee_invalid_op 0
		.amdhsa_exception_fp_denorm_src 0
		.amdhsa_exception_fp_ieee_div_zero 0
		.amdhsa_exception_fp_ieee_overflow 0
		.amdhsa_exception_fp_ieee_underflow 0
		.amdhsa_exception_fp_ieee_inexact 0
		.amdhsa_exception_int_div_zero 0
	.end_amdhsa_kernel
	.section	.text._Z14transposeNaiveIdEvPT_PKS0_m,"axG",@progbits,_Z14transposeNaiveIdEvPT_PKS0_m,comdat
.Lfunc_end6:
	.size	_Z14transposeNaiveIdEvPT_PKS0_m, .Lfunc_end6-_Z14transposeNaiveIdEvPT_PKS0_m
                                        ; -- End function
	.set _Z14transposeNaiveIdEvPT_PKS0_m.num_vgpr, 16
	.set _Z14transposeNaiveIdEvPT_PKS0_m.num_agpr, 0
	.set _Z14transposeNaiveIdEvPT_PKS0_m.numbered_sgpr, 10
	.set _Z14transposeNaiveIdEvPT_PKS0_m.num_named_barrier, 0
	.set _Z14transposeNaiveIdEvPT_PKS0_m.private_seg_size, 0
	.set _Z14transposeNaiveIdEvPT_PKS0_m.uses_vcc, 1
	.set _Z14transposeNaiveIdEvPT_PKS0_m.uses_flat_scratch, 0
	.set _Z14transposeNaiveIdEvPT_PKS0_m.has_dyn_sized_stack, 0
	.set _Z14transposeNaiveIdEvPT_PKS0_m.has_recursion, 0
	.set _Z14transposeNaiveIdEvPT_PKS0_m.has_indirect_call, 0
	.section	.AMDGPU.csdata,"",@progbits
; Kernel info:
; codeLenInByte = 336
; TotalNumSgprs: 12
; NumVgprs: 16
; ScratchSize: 0
; MemoryBound: 0
; FloatMode: 240
; IeeeMode: 1
; LDSByteSize: 0 bytes/workgroup (compile time only)
; SGPRBlocks: 0
; VGPRBlocks: 0
; NumSGPRsForWavesPerEU: 12
; NumVGPRsForWavesPerEU: 16
; NamedBarCnt: 0
; Occupancy: 16
; WaveLimiterHint : 0
; COMPUTE_PGM_RSRC2:SCRATCH_EN: 0
; COMPUTE_PGM_RSRC2:USER_SGPR: 2
; COMPUTE_PGM_RSRC2:TRAP_HANDLER: 0
; COMPUTE_PGM_RSRC2:TGID_X_EN: 1
; COMPUTE_PGM_RSRC2:TGID_Y_EN: 1
; COMPUTE_PGM_RSRC2:TGID_Z_EN: 0
; COMPUTE_PGM_RSRC2:TIDIG_COMP_CNT: 1
	.section	.text._Z27transposeLdsNoBankConflictsIdEvPT_PKS0_m,"axG",@progbits,_Z27transposeLdsNoBankConflictsIdEvPT_PKS0_m,comdat
	.protected	_Z27transposeLdsNoBankConflictsIdEvPT_PKS0_m ; -- Begin function _Z27transposeLdsNoBankConflictsIdEvPT_PKS0_m
	.globl	_Z27transposeLdsNoBankConflictsIdEvPT_PKS0_m
	.p2align	8
	.type	_Z27transposeLdsNoBankConflictsIdEvPT_PKS0_m,@function
_Z27transposeLdsNoBankConflictsIdEvPT_PKS0_m: ; @_Z27transposeLdsNoBankConflictsIdEvPT_PKS0_m
; %bb.0:
	s_bfe_u32 s2, ttmp6, 0x4000c
	s_bfe_u32 s4, ttmp6, 0x40010
	s_add_co_i32 s2, s2, 1
	s_and_b32 s3, ttmp6, 15
	s_mul_i32 s2, ttmp9, s2
	s_add_co_i32 s4, s4, 1
	s_add_co_i32 s3, s3, s2
	s_mul_i32 s2, ttmp7, s4
	s_bfe_u32 s4, ttmp6, 0x40004
	s_getreg_b32 s5, hwreg(HW_REG_IB_STS2, 6, 4)
	s_add_co_i32 s4, s4, s2
	s_cmp_eq_u32 s5, 0
	v_bfe_u32 v2, v0, 10, 10
	s_cselect_b32 s2, ttmp7, s4
	s_cselect_b32 s4, ttmp9, s3
	s_lshl_b32 s10, s2, 6
	s_delay_alu instid0(VALU_DEP_1) | instid1(SALU_CYCLE_1)
	v_dual_mov_b32 v1, 0 :: v_dual_add_nc_u32 v4, s10, v2
	s_load_b64 s[6:7], s[0:1], 0x10
	v_and_b32_e32 v3, 0x3ff, v0
	s_lshl_b32 s11, s4, 6
	global_load_u16 v8, v1, s[0:1] offset:38
	v_mov_b32_e32 v5, v1
	s_wait_xcnt 0x0
	s_load_b128 s[0:3], s[0:1], 0x0
	v_dual_add_nc_u32 v0, s11, v3 :: v_dual_lshlrev_b32 v9, 3, v3
	s_mov_b64 s[8:9], 0
	s_wait_kmcnt 0x0
	v_mul_u64_e32 v[6:7], s[6:7], v[4:5]
	s_delay_alu instid0(VALU_DEP_1) | instskip(SKIP_1) | instid1(VALU_DEP_1)
	v_lshl_add_u64 v[6:7], v[6:7], 3, s[2:3]
	s_mov_b32 s3, 0
	v_lshl_add_u64 v[0:1], v[0:1], 3, v[6:7]
	v_mad_u32_u24 v6, 0x208, v2, v9
	s_wait_loadcnt 0x0
	v_and_b32_e32 v4, 0xffff, v8
	v_readfirstlane_b32 s2, v8
	s_delay_alu instid0(VALU_DEP_2) | instskip(SKIP_1) | instid1(SALU_CYCLE_1)
	v_mul_lo_u32 v5, 0x208, v4
	s_and_b32 s2, s2, 0xffff
	s_mul_u64 s[4:5], s[6:7], s[2:3]
	s_delay_alu instid0(SALU_CYCLE_1)
	s_lshl_b64 s[4:5], s[4:5], 3
.LBB7_1:                                ; =>This Inner Loop Header: Depth=1
	global_load_b64 v[8:9], v[0:1], off
	s_add_nc_u64 s[8:9], s[8:9], s[2:3]
	s_wait_xcnt 0x0
	v_add_nc_u64_e32 v[0:1], s[4:5], v[0:1]
	v_cmp_gt_u64_e64 s12, s[8:9], 63
	s_and_b32 vcc_lo, exec_lo, s12
	s_wait_loadcnt 0x0
	ds_store_b64 v6, v[8:9]
	v_add_nc_u32_e32 v6, v6, v5
	s_cbranch_vccz .LBB7_1
; %bb.2:
	v_dual_mov_b32 v1, 0 :: v_dual_add_nc_u32 v0, s11, v2
	s_wait_dscnt 0x0
	s_barrier_signal -1
	s_barrier_wait -1
	v_lshlrev_b32_e32 v2, 3, v2
	v_mul_u64_e32 v[6:7], s[6:7], v[0:1]
	v_add_nc_u32_e32 v0, s10, v3
	s_delay_alu instid0(VALU_DEP_3) | instskip(SKIP_1) | instid1(VALU_DEP_4)
	v_mad_u32_u24 v2, 0x208, v3, v2
	v_lshlrev_b32_e32 v3, 3, v4
	v_lshl_add_u64 v[6:7], v[6:7], 3, s[0:1]
	s_mov_b64 s[0:1], 0
	s_delay_alu instid0(VALU_DEP_1)
	v_lshl_add_u64 v[0:1], v[0:1], 3, v[6:7]
.LBB7_3:                                ; =>This Inner Loop Header: Depth=1
	ds_load_b64 v[4:5], v2
	s_add_nc_u64 s[0:1], s[0:1], s[2:3]
	v_add_nc_u32_e32 v2, v2, v3
	v_cmp_gt_u64_e64 s6, s[0:1], 63
	s_and_b32 vcc_lo, exec_lo, s6
	s_wait_dscnt 0x0
	global_store_b64 v[0:1], v[4:5], off
	s_wait_xcnt 0x0
	v_add_nc_u64_e32 v[0:1], s[4:5], v[0:1]
	s_cbranch_vccz .LBB7_3
; %bb.4:
	s_endpgm
	.section	.rodata,"a",@progbits
	.p2align	6, 0x0
	.amdhsa_kernel _Z27transposeLdsNoBankConflictsIdEvPT_PKS0_m
		.amdhsa_group_segment_fixed_size 33280
		.amdhsa_private_segment_fixed_size 0
		.amdhsa_kernarg_size 280
		.amdhsa_user_sgpr_count 2
		.amdhsa_user_sgpr_dispatch_ptr 0
		.amdhsa_user_sgpr_queue_ptr 0
		.amdhsa_user_sgpr_kernarg_segment_ptr 1
		.amdhsa_user_sgpr_dispatch_id 0
		.amdhsa_user_sgpr_kernarg_preload_length 0
		.amdhsa_user_sgpr_kernarg_preload_offset 0
		.amdhsa_user_sgpr_private_segment_size 0
		.amdhsa_wavefront_size32 1
		.amdhsa_uses_dynamic_stack 0
		.amdhsa_enable_private_segment 0
		.amdhsa_system_sgpr_workgroup_id_x 1
		.amdhsa_system_sgpr_workgroup_id_y 1
		.amdhsa_system_sgpr_workgroup_id_z 0
		.amdhsa_system_sgpr_workgroup_info 0
		.amdhsa_system_vgpr_workitem_id 1
		.amdhsa_next_free_vgpr 10
		.amdhsa_next_free_sgpr 13
		.amdhsa_named_barrier_count 0
		.amdhsa_reserve_vcc 1
		.amdhsa_float_round_mode_32 0
		.amdhsa_float_round_mode_16_64 0
		.amdhsa_float_denorm_mode_32 3
		.amdhsa_float_denorm_mode_16_64 3
		.amdhsa_fp16_overflow 0
		.amdhsa_memory_ordered 1
		.amdhsa_forward_progress 1
		.amdhsa_inst_pref_size 4
		.amdhsa_round_robin_scheduling 0
		.amdhsa_exception_fp_ieee_invalid_op 0
		.amdhsa_exception_fp_denorm_src 0
		.amdhsa_exception_fp_ieee_div_zero 0
		.amdhsa_exception_fp_ieee_overflow 0
		.amdhsa_exception_fp_ieee_underflow 0
		.amdhsa_exception_fp_ieee_inexact 0
		.amdhsa_exception_int_div_zero 0
	.end_amdhsa_kernel
	.section	.text._Z27transposeLdsNoBankConflictsIdEvPT_PKS0_m,"axG",@progbits,_Z27transposeLdsNoBankConflictsIdEvPT_PKS0_m,comdat
.Lfunc_end7:
	.size	_Z27transposeLdsNoBankConflictsIdEvPT_PKS0_m, .Lfunc_end7-_Z27transposeLdsNoBankConflictsIdEvPT_PKS0_m
                                        ; -- End function
	.set _Z27transposeLdsNoBankConflictsIdEvPT_PKS0_m.num_vgpr, 10
	.set _Z27transposeLdsNoBankConflictsIdEvPT_PKS0_m.num_agpr, 0
	.set _Z27transposeLdsNoBankConflictsIdEvPT_PKS0_m.numbered_sgpr, 13
	.set _Z27transposeLdsNoBankConflictsIdEvPT_PKS0_m.num_named_barrier, 0
	.set _Z27transposeLdsNoBankConflictsIdEvPT_PKS0_m.private_seg_size, 0
	.set _Z27transposeLdsNoBankConflictsIdEvPT_PKS0_m.uses_vcc, 1
	.set _Z27transposeLdsNoBankConflictsIdEvPT_PKS0_m.uses_flat_scratch, 0
	.set _Z27transposeLdsNoBankConflictsIdEvPT_PKS0_m.has_dyn_sized_stack, 0
	.set _Z27transposeLdsNoBankConflictsIdEvPT_PKS0_m.has_recursion, 0
	.set _Z27transposeLdsNoBankConflictsIdEvPT_PKS0_m.has_indirect_call, 0
	.section	.AMDGPU.csdata,"",@progbits
; Kernel info:
; codeLenInByte = 444
; TotalNumSgprs: 15
; NumVgprs: 10
; ScratchSize: 0
; MemoryBound: 0
; FloatMode: 240
; IeeeMode: 1
; LDSByteSize: 33280 bytes/workgroup (compile time only)
; SGPRBlocks: 0
; VGPRBlocks: 0
; NumSGPRsForWavesPerEU: 15
; NumVGPRsForWavesPerEU: 10
; NamedBarCnt: 0
; Occupancy: 16
; WaveLimiterHint : 0
; COMPUTE_PGM_RSRC2:SCRATCH_EN: 0
; COMPUTE_PGM_RSRC2:USER_SGPR: 2
; COMPUTE_PGM_RSRC2:TRAP_HANDLER: 0
; COMPUTE_PGM_RSRC2:TGID_X_EN: 1
; COMPUTE_PGM_RSRC2:TGID_Y_EN: 1
; COMPUTE_PGM_RSRC2:TGID_Z_EN: 0
; COMPUTE_PGM_RSRC2:TIDIG_COMP_CNT: 1
	.section	.text._Z23transposeLdsSwapInplaceIdEvPT_PKS0_m,"axG",@progbits,_Z23transposeLdsSwapInplaceIdEvPT_PKS0_m,comdat
	.protected	_Z23transposeLdsSwapInplaceIdEvPT_PKS0_m ; -- Begin function _Z23transposeLdsSwapInplaceIdEvPT_PKS0_m
	.globl	_Z23transposeLdsSwapInplaceIdEvPT_PKS0_m
	.p2align	8
	.type	_Z23transposeLdsSwapInplaceIdEvPT_PKS0_m,@function
_Z23transposeLdsSwapInplaceIdEvPT_PKS0_m: ; @_Z23transposeLdsSwapInplaceIdEvPT_PKS0_m
; %bb.0:
	s_clause 0x1
	s_load_b128 s[4:7], s[0:1], 0x0
	s_load_b64 s[10:11], s[0:1], 0x10
	s_bfe_u32 s2, ttmp6, 0x4000c
	v_bfe_u32 v2, v0, 10, 10
	s_add_co_i32 s2, s2, 1
	v_and_b32_e32 v0, 0x3ff, v0
	s_and_b32 s3, ttmp6, 15
	s_mul_i32 s2, ttmp9, s2
	s_getreg_b32 s12, hwreg(HW_REG_IB_STS2, 6, 4)
	s_add_co_i32 s3, s3, s2
	s_cmp_eq_u32 s12, 0
	v_dual_mov_b32 v3, 0 :: v_dual_lshlrev_b32 v12, 3, v0
	v_cmp_gt_u32_e32 vcc_lo, 64, v2
	s_cselect_b32 s2, ttmp9, s3
	s_mov_b32 s3, 0
	s_lshl_b32 s8, s2, 6
	s_and_saveexec_b32 s9, vcc_lo
	s_cbranch_execz .LBB8_3
; %bb.1:
	global_load_u16 v1, v3, s[0:1] offset:38
	s_bfe_u32 s2, ttmp6, 0x40010
	s_bfe_u32 s13, ttmp6, 0x40004
	s_add_co_i32 s2, s2, 1
	v_add_nc_u32_e32 v10, s8, v0
	s_mul_i32 s2, ttmp7, s2
	s_delay_alu instid0(SALU_CYCLE_1) | instskip(SKIP_2) | instid1(SALU_CYCLE_1)
	s_add_co_i32 s13, s13, s2
	s_cmp_eq_u32 s12, 0
	s_cselect_b32 s2, ttmp7, s13
	s_lshl_b32 s2, s2, 6
	s_delay_alu instid0(SALU_CYCLE_1) | instskip(SKIP_1) | instid1(VALU_DEP_1)
	v_add_nc_u64_e32 v[4:5], s[2:3], v[2:3]
	s_wait_kmcnt 0x0
	v_mul_u64_e32 v[6:7], s[10:11], v[4:5]
	v_mov_b32_e32 v5, v3
	s_wait_loadcnt 0x0
	v_and_b32_e32 v4, 0xffff, v1
	v_mov_b32_e32 v11, v3
	v_lshl_add_u32 v1, v2, 9, v12
	s_delay_alu instid0(VALU_DEP_3) | instskip(SKIP_1) | instid1(VALU_DEP_4)
	v_mul_u64_e32 v[8:9], s[10:11], v[4:5]
	v_lshlrev_b32_e32 v13, 9, v4
	v_lshlrev_b64_e32 v[10:11], 3, v[10:11]
	s_delay_alu instid0(VALU_DEP_1) | instskip(SKIP_1) | instid1(VALU_DEP_2)
	v_lshl_add_u64 v[6:7], v[6:7], 3, v[10:11]
	v_mov_b64_e32 v[10:11], v[2:3]
	v_add_nc_u64_e32 v[6:7], s[6:7], v[6:7]
	v_lshlrev_b64_e32 v[8:9], 3, v[8:9]
.LBB8_2:                                ; =>This Inner Loop Header: Depth=1
	global_load_b64 v[14:15], v[6:7], off
	v_add_nc_u64_e32 v[10:11], v[10:11], v[4:5]
	s_wait_xcnt 0x0
	v_add_nc_u64_e32 v[6:7], v[6:7], v[8:9]
	s_delay_alu instid0(VALU_DEP_2)
	v_cmp_lt_u64_e64 s2, 63, v[10:11]
	s_or_b32 s3, s2, s3
	s_wait_loadcnt 0x0
	ds_store_b64 v1, v[14:15]
	v_add_nc_u32_e32 v1, v1, v13
	s_and_not1_b32 exec_lo, exec_lo, s3
	s_cbranch_execnz .LBB8_2
.LBB8_3:
	s_or_b32 exec_lo, exec_lo, s9
	s_wait_dscnt 0x0
	s_barrier_signal -1
	s_barrier_wait -1
	s_and_saveexec_b32 s3, vcc_lo
	s_cbranch_execz .LBB8_8
; %bb.4:
	v_dual_mov_b32 v1, 0 :: v_dual_lshlrev_b32 v7, 3, v2
	v_mul_u32_u24_e32 v6, 0x1f8, v0
	v_lshl_add_u32 v8, v2, 9, v12
	s_wait_kmcnt 0x0
	s_mov_b32 s6, 0
	global_load_u16 v4, v1, s[0:1] offset:38
	v_add3_u32 v9, v6, v12, v7
	v_mov_b64_e32 v[6:7], v[2:3]
	s_wait_loadcnt 0x0
	v_and_b32_e32 v4, 0xffff, v4
	s_delay_alu instid0(VALU_DEP_1)
	v_dual_mov_b32 v5, v1 :: v_dual_lshlrev_b32 v10, 9, v4
	v_lshlrev_b32_e32 v11, 3, v4
	s_branch .LBB8_6
.LBB8_5:                                ;   in Loop: Header=BB8_6 Depth=1
	s_or_b32 exec_lo, exec_lo, s7
	v_add_nc_u64_e32 v[6:7], v[6:7], v[4:5]
	v_dual_add_nc_u32 v8, v8, v10 :: v_dual_add_nc_u32 v9, v9, v11
	s_delay_alu instid0(VALU_DEP_2) | instskip(SKIP_1) | instid1(SALU_CYCLE_1)
	v_cmp_lt_u64_e64 s2, 63, v[6:7]
	s_or_b32 s6, s2, s6
	s_and_not1_b32 exec_lo, exec_lo, s6
	s_cbranch_execz .LBB8_8
.LBB8_6:                                ; =>This Inner Loop Header: Depth=1
	s_mov_b32 s7, exec_lo
	v_cmpx_lt_u64_e64 v[6:7], v[0:1]
	s_cbranch_execz .LBB8_5
; %bb.7:                                ;   in Loop: Header=BB8_6 Depth=1
	ds_load_b64 v[14:15], v9
	ds_load_b64 v[16:17], v8
	s_wait_dscnt 0x1
	ds_store_b64 v8, v[14:15]
	s_wait_dscnt 0x1
	ds_store_b64 v9, v[16:17]
	s_branch .LBB8_5
.LBB8_8:
	s_or_b32 exec_lo, exec_lo, s3
	s_wait_dscnt 0x0
	s_barrier_signal -1
	s_barrier_wait -1
	s_and_saveexec_b32 s2, vcc_lo
	s_cbranch_execz .LBB8_11
; %bb.9:
	v_mov_b32_e32 v1, 0
	s_mov_b32 s9, 0
	s_delay_alu instid0(SALU_CYCLE_1)
	v_add_nc_u64_e32 v[4:5], s[8:9], v[2:3]
	global_load_u16 v8, v1, s[0:1] offset:38
	s_wait_xcnt 0x0
	s_bfe_u32 s0, ttmp6, 0x40010
	s_bfe_u32 s1, ttmp6, 0x40004
	s_add_co_i32 s0, s0, 1
	s_wait_kmcnt 0x0
	v_mul_u64_e32 v[6:7], s[10:11], v[4:5]
	v_mov_b32_e32 v5, v1
	s_mul_i32 s0, ttmp7, s0
	s_delay_alu instid0(SALU_CYCLE_1) | instskip(SKIP_2) | instid1(SALU_CYCLE_1)
	s_add_co_i32 s1, s1, s0
	s_cmp_eq_u32 s12, 0
	s_cselect_b32 s0, ttmp7, s1
	v_lshl_add_u32 v0, s0, 6, v0
	s_delay_alu instid0(VALU_DEP_1) | instskip(NEXT) | instid1(VALU_DEP_1)
	v_lshlrev_b64_e32 v[0:1], 3, v[0:1]
	v_lshl_add_u64 v[0:1], v[6:7], 3, v[0:1]
	s_delay_alu instid0(VALU_DEP_1) | instskip(SKIP_2) | instid1(VALU_DEP_1)
	v_add_nc_u64_e32 v[0:1], s[4:5], v[0:1]
	s_wait_loadcnt 0x0
	v_and_b32_e32 v4, 0xffff, v8
	v_mul_u64_e32 v[8:9], s[10:11], v[4:5]
	s_delay_alu instid0(VALU_DEP_1)
	v_lshlrev_b64_e32 v[6:7], 3, v[8:9]
	v_lshl_add_u32 v8, v2, 9, v12
	v_lshlrev_b32_e32 v9, 9, v4
.LBB8_10:                               ; =>This Inner Loop Header: Depth=1
	ds_load_b64 v[10:11], v8
	v_add_nc_u64_e32 v[2:3], v[2:3], v[4:5]
	v_add_nc_u32_e32 v8, v8, v9
	s_delay_alu instid0(VALU_DEP_2)
	v_cmp_lt_u64_e32 vcc_lo, 63, v[2:3]
	s_or_b32 s9, vcc_lo, s9
	s_wait_dscnt 0x0
	global_store_b64 v[0:1], v[10:11], off
	s_wait_xcnt 0x0
	v_add_nc_u64_e32 v[0:1], v[0:1], v[6:7]
	s_and_not1_b32 exec_lo, exec_lo, s9
	s_cbranch_execnz .LBB8_10
.LBB8_11:
	s_endpgm
	.section	.rodata,"a",@progbits
	.p2align	6, 0x0
	.amdhsa_kernel _Z23transposeLdsSwapInplaceIdEvPT_PKS0_m
		.amdhsa_group_segment_fixed_size 32768
		.amdhsa_private_segment_fixed_size 0
		.amdhsa_kernarg_size 280
		.amdhsa_user_sgpr_count 2
		.amdhsa_user_sgpr_dispatch_ptr 0
		.amdhsa_user_sgpr_queue_ptr 0
		.amdhsa_user_sgpr_kernarg_segment_ptr 1
		.amdhsa_user_sgpr_dispatch_id 0
		.amdhsa_user_sgpr_kernarg_preload_length 0
		.amdhsa_user_sgpr_kernarg_preload_offset 0
		.amdhsa_user_sgpr_private_segment_size 0
		.amdhsa_wavefront_size32 1
		.amdhsa_uses_dynamic_stack 0
		.amdhsa_enable_private_segment 0
		.amdhsa_system_sgpr_workgroup_id_x 1
		.amdhsa_system_sgpr_workgroup_id_y 1
		.amdhsa_system_sgpr_workgroup_id_z 0
		.amdhsa_system_sgpr_workgroup_info 0
		.amdhsa_system_vgpr_workitem_id 1
		.amdhsa_next_free_vgpr 18
		.amdhsa_next_free_sgpr 14
		.amdhsa_named_barrier_count 0
		.amdhsa_reserve_vcc 1
		.amdhsa_float_round_mode_32 0
		.amdhsa_float_round_mode_16_64 0
		.amdhsa_float_denorm_mode_32 3
		.amdhsa_float_denorm_mode_16_64 3
		.amdhsa_fp16_overflow 0
		.amdhsa_memory_ordered 1
		.amdhsa_forward_progress 1
		.amdhsa_inst_pref_size 6
		.amdhsa_round_robin_scheduling 0
		.amdhsa_exception_fp_ieee_invalid_op 0
		.amdhsa_exception_fp_denorm_src 0
		.amdhsa_exception_fp_ieee_div_zero 0
		.amdhsa_exception_fp_ieee_overflow 0
		.amdhsa_exception_fp_ieee_underflow 0
		.amdhsa_exception_fp_ieee_inexact 0
		.amdhsa_exception_int_div_zero 0
	.end_amdhsa_kernel
	.section	.text._Z23transposeLdsSwapInplaceIdEvPT_PKS0_m,"axG",@progbits,_Z23transposeLdsSwapInplaceIdEvPT_PKS0_m,comdat
.Lfunc_end8:
	.size	_Z23transposeLdsSwapInplaceIdEvPT_PKS0_m, .Lfunc_end8-_Z23transposeLdsSwapInplaceIdEvPT_PKS0_m
                                        ; -- End function
	.set _Z23transposeLdsSwapInplaceIdEvPT_PKS0_m.num_vgpr, 18
	.set _Z23transposeLdsSwapInplaceIdEvPT_PKS0_m.num_agpr, 0
	.set _Z23transposeLdsSwapInplaceIdEvPT_PKS0_m.numbered_sgpr, 14
	.set _Z23transposeLdsSwapInplaceIdEvPT_PKS0_m.num_named_barrier, 0
	.set _Z23transposeLdsSwapInplaceIdEvPT_PKS0_m.private_seg_size, 0
	.set _Z23transposeLdsSwapInplaceIdEvPT_PKS0_m.uses_vcc, 1
	.set _Z23transposeLdsSwapInplaceIdEvPT_PKS0_m.uses_flat_scratch, 0
	.set _Z23transposeLdsSwapInplaceIdEvPT_PKS0_m.has_dyn_sized_stack, 0
	.set _Z23transposeLdsSwapInplaceIdEvPT_PKS0_m.has_recursion, 0
	.set _Z23transposeLdsSwapInplaceIdEvPT_PKS0_m.has_indirect_call, 0
	.section	.AMDGPU.csdata,"",@progbits
; Kernel info:
; codeLenInByte = 768
; TotalNumSgprs: 16
; NumVgprs: 18
; ScratchSize: 0
; MemoryBound: 0
; FloatMode: 240
; IeeeMode: 1
; LDSByteSize: 32768 bytes/workgroup (compile time only)
; SGPRBlocks: 0
; VGPRBlocks: 1
; NumSGPRsForWavesPerEU: 16
; NumVGPRsForWavesPerEU: 18
; NamedBarCnt: 0
; Occupancy: 16
; WaveLimiterHint : 0
; COMPUTE_PGM_RSRC2:SCRATCH_EN: 0
; COMPUTE_PGM_RSRC2:USER_SGPR: 2
; COMPUTE_PGM_RSRC2:TRAP_HANDLER: 0
; COMPUTE_PGM_RSRC2:TGID_X_EN: 1
; COMPUTE_PGM_RSRC2:TGID_Y_EN: 1
; COMPUTE_PGM_RSRC2:TGID_Z_EN: 0
; COMPUTE_PGM_RSRC2:TIDIG_COMP_CNT: 1
	.section	.AMDGPU.gpr_maximums,"",@progbits
	.set amdgpu.max_num_vgpr, 0
	.set amdgpu.max_num_agpr, 0
	.set amdgpu.max_num_sgpr, 0
	.section	.AMDGPU.csdata,"",@progbits
	.type	__hip_cuid_7679bf174e3d8cc6,@object ; @__hip_cuid_7679bf174e3d8cc6
	.section	.bss,"aw",@nobits
	.globl	__hip_cuid_7679bf174e3d8cc6
__hip_cuid_7679bf174e3d8cc6:
	.byte	0                               ; 0x0
	.size	__hip_cuid_7679bf174e3d8cc6, 1

	.ident	"AMD clang version 22.0.0git (https://github.com/RadeonOpenCompute/llvm-project roc-7.2.4 26084 f58b06dce1f9c15707c5f808fd002e18c2accf7e)"
	.section	".note.GNU-stack","",@progbits
	.addrsig
	.addrsig_sym __hip_cuid_7679bf174e3d8cc6
	.amdgpu_metadata
---
amdhsa.kernels:
  - .args:
      - .address_space:  global
        .offset:         0
        .size:           8
        .value_kind:     global_buffer
      - .address_space:  global
        .offset:         8
        .size:           8
        .value_kind:     global_buffer
      - .offset:         16
        .size:           8
        .value_kind:     by_value
      - .offset:         24
        .size:           4
        .value_kind:     hidden_block_count_x
      - .offset:         28
        .size:           4
        .value_kind:     hidden_block_count_y
      - .offset:         32
        .size:           4
        .value_kind:     hidden_block_count_z
      - .offset:         36
        .size:           2
        .value_kind:     hidden_group_size_x
      - .offset:         38
        .size:           2
        .value_kind:     hidden_group_size_y
      - .offset:         40
        .size:           2
        .value_kind:     hidden_group_size_z
      - .offset:         42
        .size:           2
        .value_kind:     hidden_remainder_x
      - .offset:         44
        .size:           2
        .value_kind:     hidden_remainder_y
      - .offset:         46
        .size:           2
        .value_kind:     hidden_remainder_z
      - .offset:         64
        .size:           8
        .value_kind:     hidden_global_offset_x
      - .offset:         72
        .size:           8
        .value_kind:     hidden_global_offset_y
      - .offset:         80
        .size:           8
        .value_kind:     hidden_global_offset_z
      - .offset:         88
        .size:           2
        .value_kind:     hidden_grid_dims
    .group_segment_fixed_size: 0
    .kernarg_segment_align: 8
    .kernarg_segment_size: 280
    .language:       OpenCL C
    .language_version:
      - 2
      - 0
    .max_flat_workgroup_size: 1024
    .name:           _Z14transposeNaiveIiEvPT_PKS0_m
    .private_segment_fixed_size: 0
    .sgpr_count:     12
    .sgpr_spill_count: 0
    .symbol:         _Z14transposeNaiveIiEvPT_PKS0_m.kd
    .uniform_work_group_size: 1
    .uses_dynamic_stack: false
    .vgpr_count:     16
    .vgpr_spill_count: 0
    .wavefront_size: 32
  - .args:
      - .address_space:  global
        .offset:         0
        .size:           8
        .value_kind:     global_buffer
      - .address_space:  global
        .offset:         8
        .size:           8
        .value_kind:     global_buffer
      - .offset:         16
        .size:           8
        .value_kind:     by_value
      - .offset:         24
        .size:           4
        .value_kind:     hidden_block_count_x
      - .offset:         28
        .size:           4
        .value_kind:     hidden_block_count_y
      - .offset:         32
        .size:           4
        .value_kind:     hidden_block_count_z
      - .offset:         36
        .size:           2
        .value_kind:     hidden_group_size_x
      - .offset:         38
        .size:           2
        .value_kind:     hidden_group_size_y
      - .offset:         40
        .size:           2
        .value_kind:     hidden_group_size_z
      - .offset:         42
        .size:           2
        .value_kind:     hidden_remainder_x
      - .offset:         44
        .size:           2
        .value_kind:     hidden_remainder_y
      - .offset:         46
        .size:           2
        .value_kind:     hidden_remainder_z
      - .offset:         64
        .size:           8
        .value_kind:     hidden_global_offset_x
      - .offset:         72
        .size:           8
        .value_kind:     hidden_global_offset_y
      - .offset:         80
        .size:           8
        .value_kind:     hidden_global_offset_z
      - .offset:         88
        .size:           2
        .value_kind:     hidden_grid_dims
    .group_segment_fixed_size: 16640
    .kernarg_segment_align: 8
    .kernarg_segment_size: 280
    .language:       OpenCL C
    .language_version:
      - 2
      - 0
    .max_flat_workgroup_size: 1024
    .name:           _Z27transposeLdsNoBankConflictsIiEvPT_PKS0_m
    .private_segment_fixed_size: 0
    .sgpr_count:     30
    .sgpr_spill_count: 0
    .symbol:         _Z27transposeLdsNoBankConflictsIiEvPT_PKS0_m.kd
    .uniform_work_group_size: 1
    .uses_dynamic_stack: false
    .vgpr_count:     18
    .vgpr_spill_count: 0
    .wavefront_size: 32
  - .args:
      - .address_space:  global
        .offset:         0
        .size:           8
        .value_kind:     global_buffer
      - .address_space:  global
        .offset:         8
        .size:           8
        .value_kind:     global_buffer
      - .offset:         16
        .size:           8
        .value_kind:     by_value
      - .offset:         24
        .size:           4
        .value_kind:     hidden_block_count_x
      - .offset:         28
        .size:           4
        .value_kind:     hidden_block_count_y
      - .offset:         32
        .size:           4
        .value_kind:     hidden_block_count_z
      - .offset:         36
        .size:           2
        .value_kind:     hidden_group_size_x
      - .offset:         38
        .size:           2
        .value_kind:     hidden_group_size_y
      - .offset:         40
        .size:           2
        .value_kind:     hidden_group_size_z
      - .offset:         42
        .size:           2
        .value_kind:     hidden_remainder_x
      - .offset:         44
        .size:           2
        .value_kind:     hidden_remainder_y
      - .offset:         46
        .size:           2
        .value_kind:     hidden_remainder_z
      - .offset:         64
        .size:           8
        .value_kind:     hidden_global_offset_x
      - .offset:         72
        .size:           8
        .value_kind:     hidden_global_offset_y
      - .offset:         80
        .size:           8
        .value_kind:     hidden_global_offset_z
      - .offset:         88
        .size:           2
        .value_kind:     hidden_grid_dims
    .group_segment_fixed_size: 16384
    .kernarg_segment_align: 8
    .kernarg_segment_size: 280
    .language:       OpenCL C
    .language_version:
      - 2
      - 0
    .max_flat_workgroup_size: 1024
    .name:           _Z23transposeLdsSwapInplaceIiEvPT_PKS0_m
    .private_segment_fixed_size: 0
    .sgpr_count:     23
    .sgpr_spill_count: 0
    .symbol:         _Z23transposeLdsSwapInplaceIiEvPT_PKS0_m.kd
    .uniform_work_group_size: 1
    .uses_dynamic_stack: false
    .vgpr_count:     24
    .vgpr_spill_count: 0
    .wavefront_size: 32
  - .args:
      - .address_space:  global
        .offset:         0
        .size:           8
        .value_kind:     global_buffer
      - .address_space:  global
        .offset:         8
        .size:           8
        .value_kind:     global_buffer
      - .offset:         16
        .size:           8
        .value_kind:     by_value
      - .offset:         24
        .size:           4
        .value_kind:     hidden_block_count_x
      - .offset:         28
        .size:           4
        .value_kind:     hidden_block_count_y
      - .offset:         32
        .size:           4
        .value_kind:     hidden_block_count_z
      - .offset:         36
        .size:           2
        .value_kind:     hidden_group_size_x
      - .offset:         38
        .size:           2
        .value_kind:     hidden_group_size_y
      - .offset:         40
        .size:           2
        .value_kind:     hidden_group_size_z
      - .offset:         42
        .size:           2
        .value_kind:     hidden_remainder_x
      - .offset:         44
        .size:           2
        .value_kind:     hidden_remainder_y
      - .offset:         46
        .size:           2
        .value_kind:     hidden_remainder_z
      - .offset:         64
        .size:           8
        .value_kind:     hidden_global_offset_x
      - .offset:         72
        .size:           8
        .value_kind:     hidden_global_offset_y
      - .offset:         80
        .size:           8
        .value_kind:     hidden_global_offset_z
      - .offset:         88
        .size:           2
        .value_kind:     hidden_grid_dims
    .group_segment_fixed_size: 0
    .kernarg_segment_align: 8
    .kernarg_segment_size: 280
    .language:       OpenCL C
    .language_version:
      - 2
      - 0
    .max_flat_workgroup_size: 1024
    .name:           _Z14transposeNaiveIfEvPT_PKS0_m
    .private_segment_fixed_size: 0
    .sgpr_count:     12
    .sgpr_spill_count: 0
    .symbol:         _Z14transposeNaiveIfEvPT_PKS0_m.kd
    .uniform_work_group_size: 1
    .uses_dynamic_stack: false
    .vgpr_count:     16
    .vgpr_spill_count: 0
    .wavefront_size: 32
  - .args:
      - .address_space:  global
        .offset:         0
        .size:           8
        .value_kind:     global_buffer
      - .address_space:  global
        .offset:         8
        .size:           8
        .value_kind:     global_buffer
      - .offset:         16
        .size:           8
        .value_kind:     by_value
      - .offset:         24
        .size:           4
        .value_kind:     hidden_block_count_x
      - .offset:         28
        .size:           4
        .value_kind:     hidden_block_count_y
      - .offset:         32
        .size:           4
        .value_kind:     hidden_block_count_z
      - .offset:         36
        .size:           2
        .value_kind:     hidden_group_size_x
      - .offset:         38
        .size:           2
        .value_kind:     hidden_group_size_y
      - .offset:         40
        .size:           2
        .value_kind:     hidden_group_size_z
      - .offset:         42
        .size:           2
        .value_kind:     hidden_remainder_x
      - .offset:         44
        .size:           2
        .value_kind:     hidden_remainder_y
      - .offset:         46
        .size:           2
        .value_kind:     hidden_remainder_z
      - .offset:         64
        .size:           8
        .value_kind:     hidden_global_offset_x
      - .offset:         72
        .size:           8
        .value_kind:     hidden_global_offset_y
      - .offset:         80
        .size:           8
        .value_kind:     hidden_global_offset_z
      - .offset:         88
        .size:           2
        .value_kind:     hidden_grid_dims
    .group_segment_fixed_size: 16640
    .kernarg_segment_align: 8
    .kernarg_segment_size: 280
    .language:       OpenCL C
    .language_version:
      - 2
      - 0
    .max_flat_workgroup_size: 1024
    .name:           _Z27transposeLdsNoBankConflictsIfEvPT_PKS0_m
    .private_segment_fixed_size: 0
    .sgpr_count:     30
    .sgpr_spill_count: 0
    .symbol:         _Z27transposeLdsNoBankConflictsIfEvPT_PKS0_m.kd
    .uniform_work_group_size: 1
    .uses_dynamic_stack: false
    .vgpr_count:     18
    .vgpr_spill_count: 0
    .wavefront_size: 32
  - .args:
      - .address_space:  global
        .offset:         0
        .size:           8
        .value_kind:     global_buffer
      - .address_space:  global
        .offset:         8
        .size:           8
        .value_kind:     global_buffer
      - .offset:         16
        .size:           8
        .value_kind:     by_value
      - .offset:         24
        .size:           4
        .value_kind:     hidden_block_count_x
      - .offset:         28
        .size:           4
        .value_kind:     hidden_block_count_y
      - .offset:         32
        .size:           4
        .value_kind:     hidden_block_count_z
      - .offset:         36
        .size:           2
        .value_kind:     hidden_group_size_x
      - .offset:         38
        .size:           2
        .value_kind:     hidden_group_size_y
      - .offset:         40
        .size:           2
        .value_kind:     hidden_group_size_z
      - .offset:         42
        .size:           2
        .value_kind:     hidden_remainder_x
      - .offset:         44
        .size:           2
        .value_kind:     hidden_remainder_y
      - .offset:         46
        .size:           2
        .value_kind:     hidden_remainder_z
      - .offset:         64
        .size:           8
        .value_kind:     hidden_global_offset_x
      - .offset:         72
        .size:           8
        .value_kind:     hidden_global_offset_y
      - .offset:         80
        .size:           8
        .value_kind:     hidden_global_offset_z
      - .offset:         88
        .size:           2
        .value_kind:     hidden_grid_dims
    .group_segment_fixed_size: 16384
    .kernarg_segment_align: 8
    .kernarg_segment_size: 280
    .language:       OpenCL C
    .language_version:
      - 2
      - 0
    .max_flat_workgroup_size: 1024
    .name:           _Z23transposeLdsSwapInplaceIfEvPT_PKS0_m
    .private_segment_fixed_size: 0
    .sgpr_count:     23
    .sgpr_spill_count: 0
    .symbol:         _Z23transposeLdsSwapInplaceIfEvPT_PKS0_m.kd
    .uniform_work_group_size: 1
    .uses_dynamic_stack: false
    .vgpr_count:     24
    .vgpr_spill_count: 0
    .wavefront_size: 32
  - .args:
      - .address_space:  global
        .offset:         0
        .size:           8
        .value_kind:     global_buffer
      - .address_space:  global
        .offset:         8
        .size:           8
        .value_kind:     global_buffer
      - .offset:         16
        .size:           8
        .value_kind:     by_value
      - .offset:         24
        .size:           4
        .value_kind:     hidden_block_count_x
      - .offset:         28
        .size:           4
        .value_kind:     hidden_block_count_y
      - .offset:         32
        .size:           4
        .value_kind:     hidden_block_count_z
      - .offset:         36
        .size:           2
        .value_kind:     hidden_group_size_x
      - .offset:         38
        .size:           2
        .value_kind:     hidden_group_size_y
      - .offset:         40
        .size:           2
        .value_kind:     hidden_group_size_z
      - .offset:         42
        .size:           2
        .value_kind:     hidden_remainder_x
      - .offset:         44
        .size:           2
        .value_kind:     hidden_remainder_y
      - .offset:         46
        .size:           2
        .value_kind:     hidden_remainder_z
      - .offset:         64
        .size:           8
        .value_kind:     hidden_global_offset_x
      - .offset:         72
        .size:           8
        .value_kind:     hidden_global_offset_y
      - .offset:         80
        .size:           8
        .value_kind:     hidden_global_offset_z
      - .offset:         88
        .size:           2
        .value_kind:     hidden_grid_dims
    .group_segment_fixed_size: 0
    .kernarg_segment_align: 8
    .kernarg_segment_size: 280
    .language:       OpenCL C
    .language_version:
      - 2
      - 0
    .max_flat_workgroup_size: 1024
    .name:           _Z14transposeNaiveIdEvPT_PKS0_m
    .private_segment_fixed_size: 0
    .sgpr_count:     12
    .sgpr_spill_count: 0
    .symbol:         _Z14transposeNaiveIdEvPT_PKS0_m.kd
    .uniform_work_group_size: 1
    .uses_dynamic_stack: false
    .vgpr_count:     16
    .vgpr_spill_count: 0
    .wavefront_size: 32
  - .args:
      - .address_space:  global
        .offset:         0
        .size:           8
        .value_kind:     global_buffer
      - .address_space:  global
        .offset:         8
        .size:           8
        .value_kind:     global_buffer
      - .offset:         16
        .size:           8
        .value_kind:     by_value
      - .offset:         24
        .size:           4
        .value_kind:     hidden_block_count_x
      - .offset:         28
        .size:           4
        .value_kind:     hidden_block_count_y
      - .offset:         32
        .size:           4
        .value_kind:     hidden_block_count_z
      - .offset:         36
        .size:           2
        .value_kind:     hidden_group_size_x
      - .offset:         38
        .size:           2
        .value_kind:     hidden_group_size_y
      - .offset:         40
        .size:           2
        .value_kind:     hidden_group_size_z
      - .offset:         42
        .size:           2
        .value_kind:     hidden_remainder_x
      - .offset:         44
        .size:           2
        .value_kind:     hidden_remainder_y
      - .offset:         46
        .size:           2
        .value_kind:     hidden_remainder_z
      - .offset:         64
        .size:           8
        .value_kind:     hidden_global_offset_x
      - .offset:         72
        .size:           8
        .value_kind:     hidden_global_offset_y
      - .offset:         80
        .size:           8
        .value_kind:     hidden_global_offset_z
      - .offset:         88
        .size:           2
        .value_kind:     hidden_grid_dims
    .group_segment_fixed_size: 33280
    .kernarg_segment_align: 8
    .kernarg_segment_size: 280
    .language:       OpenCL C
    .language_version:
      - 2
      - 0
    .max_flat_workgroup_size: 1024
    .name:           _Z27transposeLdsNoBankConflictsIdEvPT_PKS0_m
    .private_segment_fixed_size: 0
    .sgpr_count:     15
    .sgpr_spill_count: 0
    .symbol:         _Z27transposeLdsNoBankConflictsIdEvPT_PKS0_m.kd
    .uniform_work_group_size: 1
    .uses_dynamic_stack: false
    .vgpr_count:     10
    .vgpr_spill_count: 0
    .wavefront_size: 32
  - .args:
      - .address_space:  global
        .offset:         0
        .size:           8
        .value_kind:     global_buffer
      - .address_space:  global
        .offset:         8
        .size:           8
        .value_kind:     global_buffer
      - .offset:         16
        .size:           8
        .value_kind:     by_value
      - .offset:         24
        .size:           4
        .value_kind:     hidden_block_count_x
      - .offset:         28
        .size:           4
        .value_kind:     hidden_block_count_y
      - .offset:         32
        .size:           4
        .value_kind:     hidden_block_count_z
      - .offset:         36
        .size:           2
        .value_kind:     hidden_group_size_x
      - .offset:         38
        .size:           2
        .value_kind:     hidden_group_size_y
      - .offset:         40
        .size:           2
        .value_kind:     hidden_group_size_z
      - .offset:         42
        .size:           2
        .value_kind:     hidden_remainder_x
      - .offset:         44
        .size:           2
        .value_kind:     hidden_remainder_y
      - .offset:         46
        .size:           2
        .value_kind:     hidden_remainder_z
      - .offset:         64
        .size:           8
        .value_kind:     hidden_global_offset_x
      - .offset:         72
        .size:           8
        .value_kind:     hidden_global_offset_y
      - .offset:         80
        .size:           8
        .value_kind:     hidden_global_offset_z
      - .offset:         88
        .size:           2
        .value_kind:     hidden_grid_dims
    .group_segment_fixed_size: 32768
    .kernarg_segment_align: 8
    .kernarg_segment_size: 280
    .language:       OpenCL C
    .language_version:
      - 2
      - 0
    .max_flat_workgroup_size: 1024
    .name:           _Z23transposeLdsSwapInplaceIdEvPT_PKS0_m
    .private_segment_fixed_size: 0
    .sgpr_count:     16
    .sgpr_spill_count: 0
    .symbol:         _Z23transposeLdsSwapInplaceIdEvPT_PKS0_m.kd
    .uniform_work_group_size: 1
    .uses_dynamic_stack: false
    .vgpr_count:     18
    .vgpr_spill_count: 0
    .wavefront_size: 32
amdhsa.target:   amdgcn-amd-amdhsa--gfx1250
amdhsa.version:
  - 1
  - 2
...

	.end_amdgpu_metadata
